;; amdgpu-corpus repo=ROCm/rocFFT kind=compiled arch=gfx906 opt=O3
	.text
	.amdgcn_target "amdgcn-amd-amdhsa--gfx906"
	.amdhsa_code_object_version 6
	.protected	fft_rtc_fwd_len3375_factors_5_5_5_3_3_3_wgs_225_tpt_225_halfLds_sp_op_CI_CI_unitstride_sbrr_dirReg ; -- Begin function fft_rtc_fwd_len3375_factors_5_5_5_3_3_3_wgs_225_tpt_225_halfLds_sp_op_CI_CI_unitstride_sbrr_dirReg
	.globl	fft_rtc_fwd_len3375_factors_5_5_5_3_3_3_wgs_225_tpt_225_halfLds_sp_op_CI_CI_unitstride_sbrr_dirReg
	.p2align	8
	.type	fft_rtc_fwd_len3375_factors_5_5_5_3_3_3_wgs_225_tpt_225_halfLds_sp_op_CI_CI_unitstride_sbrr_dirReg,@function
fft_rtc_fwd_len3375_factors_5_5_5_3_3_3_wgs_225_tpt_225_halfLds_sp_op_CI_CI_unitstride_sbrr_dirReg: ; @fft_rtc_fwd_len3375_factors_5_5_5_3_3_3_wgs_225_tpt_225_halfLds_sp_op_CI_CI_unitstride_sbrr_dirReg
; %bb.0:
	s_load_dwordx4 s[8:11], s[4:5], 0x58
	s_load_dwordx4 s[12:15], s[4:5], 0x0
	;; [unrolled: 1-line block ×3, first 2 shown]
	v_mul_u32_u24_e32 v1, 0x124, v0
	v_mov_b32_e32 v7, 0
	v_mov_b32_e32 v5, 0
	s_waitcnt lgkmcnt(0)
	v_cmp_lt_u64_e64 s[0:1], s[14:15], 2
	v_add_u32_sdwa v9, s6, v1 dst_sel:DWORD dst_unused:UNUSED_PAD src0_sel:DWORD src1_sel:WORD_1
	v_mov_b32_e32 v10, v7
	s_and_b64 vcc, exec, s[0:1]
	v_mov_b32_e32 v6, 0
	s_cbranch_vccnz .LBB0_8
; %bb.1:
	s_load_dwordx2 s[0:1], s[4:5], 0x10
	s_add_u32 s2, s18, 8
	s_addc_u32 s3, s19, 0
	s_add_u32 s6, s16, 8
	s_addc_u32 s7, s17, 0
	v_mov_b32_e32 v5, 0
	s_waitcnt lgkmcnt(0)
	s_add_u32 s20, s0, 8
	v_mov_b32_e32 v6, 0
	v_mov_b32_e32 v1, v5
	s_addc_u32 s21, s1, 0
	s_mov_b64 s[22:23], 1
	v_mov_b32_e32 v2, v6
.LBB0_2:                                ; =>This Inner Loop Header: Depth=1
	s_load_dwordx2 s[24:25], s[20:21], 0x0
                                        ; implicit-def: $vgpr3_vgpr4
	s_waitcnt lgkmcnt(0)
	v_or_b32_e32 v8, s25, v10
	v_cmp_ne_u64_e32 vcc, 0, v[7:8]
	s_and_saveexec_b64 s[0:1], vcc
	s_xor_b64 s[26:27], exec, s[0:1]
	s_cbranch_execz .LBB0_4
; %bb.3:                                ;   in Loop: Header=BB0_2 Depth=1
	v_cvt_f32_u32_e32 v3, s24
	v_cvt_f32_u32_e32 v4, s25
	s_sub_u32 s0, 0, s24
	s_subb_u32 s1, 0, s25
	v_mac_f32_e32 v3, 0x4f800000, v4
	v_rcp_f32_e32 v3, v3
	v_mul_f32_e32 v3, 0x5f7ffffc, v3
	v_mul_f32_e32 v4, 0x2f800000, v3
	v_trunc_f32_e32 v4, v4
	v_mac_f32_e32 v3, 0xcf800000, v4
	v_cvt_u32_f32_e32 v4, v4
	v_cvt_u32_f32_e32 v3, v3
	v_mul_lo_u32 v8, s0, v4
	v_mul_hi_u32 v11, s0, v3
	v_mul_lo_u32 v13, s1, v3
	v_mul_lo_u32 v12, s0, v3
	v_add_u32_e32 v8, v11, v8
	v_add_u32_e32 v8, v8, v13
	v_mul_hi_u32 v11, v3, v12
	v_mul_lo_u32 v13, v3, v8
	v_mul_hi_u32 v15, v3, v8
	v_mul_hi_u32 v14, v4, v12
	v_mul_lo_u32 v12, v4, v12
	v_mul_hi_u32 v16, v4, v8
	v_add_co_u32_e32 v11, vcc, v11, v13
	v_addc_co_u32_e32 v13, vcc, 0, v15, vcc
	v_mul_lo_u32 v8, v4, v8
	v_add_co_u32_e32 v11, vcc, v11, v12
	v_addc_co_u32_e32 v11, vcc, v13, v14, vcc
	v_addc_co_u32_e32 v12, vcc, 0, v16, vcc
	v_add_co_u32_e32 v8, vcc, v11, v8
	v_addc_co_u32_e32 v11, vcc, 0, v12, vcc
	v_add_co_u32_e32 v3, vcc, v3, v8
	v_addc_co_u32_e32 v4, vcc, v4, v11, vcc
	v_mul_lo_u32 v8, s0, v4
	v_mul_hi_u32 v11, s0, v3
	v_mul_lo_u32 v12, s1, v3
	v_mul_lo_u32 v13, s0, v3
	v_add_u32_e32 v8, v11, v8
	v_add_u32_e32 v8, v8, v12
	v_mul_lo_u32 v14, v3, v8
	v_mul_hi_u32 v15, v3, v13
	v_mul_hi_u32 v16, v3, v8
	v_mul_hi_u32 v12, v4, v13
	v_mul_lo_u32 v13, v4, v13
	v_mul_hi_u32 v11, v4, v8
	v_add_co_u32_e32 v14, vcc, v15, v14
	v_addc_co_u32_e32 v15, vcc, 0, v16, vcc
	v_mul_lo_u32 v8, v4, v8
	v_add_co_u32_e32 v13, vcc, v14, v13
	v_addc_co_u32_e32 v12, vcc, v15, v12, vcc
	v_addc_co_u32_e32 v11, vcc, 0, v11, vcc
	v_add_co_u32_e32 v8, vcc, v12, v8
	v_addc_co_u32_e32 v11, vcc, 0, v11, vcc
	v_add_co_u32_e32 v8, vcc, v3, v8
	v_addc_co_u32_e32 v11, vcc, v4, v11, vcc
	v_mad_u64_u32 v[3:4], s[0:1], v9, v11, 0
	v_mul_hi_u32 v12, v9, v8
	v_add_co_u32_e32 v13, vcc, v12, v3
	v_addc_co_u32_e32 v14, vcc, 0, v4, vcc
	v_mad_u64_u32 v[3:4], s[0:1], v10, v8, 0
	v_mad_u64_u32 v[11:12], s[0:1], v10, v11, 0
	v_add_co_u32_e32 v3, vcc, v13, v3
	v_addc_co_u32_e32 v3, vcc, v14, v4, vcc
	v_addc_co_u32_e32 v4, vcc, 0, v12, vcc
	v_add_co_u32_e32 v8, vcc, v3, v11
	v_addc_co_u32_e32 v11, vcc, 0, v4, vcc
	v_mul_lo_u32 v12, s25, v8
	v_mul_lo_u32 v13, s24, v11
	v_mad_u64_u32 v[3:4], s[0:1], s24, v8, 0
	v_add3_u32 v4, v4, v13, v12
	v_sub_u32_e32 v12, v10, v4
	v_mov_b32_e32 v13, s25
	v_sub_co_u32_e32 v3, vcc, v9, v3
	v_subb_co_u32_e64 v12, s[0:1], v12, v13, vcc
	v_subrev_co_u32_e64 v13, s[0:1], s24, v3
	v_subbrev_co_u32_e64 v12, s[0:1], 0, v12, s[0:1]
	v_cmp_le_u32_e64 s[0:1], s25, v12
	v_cndmask_b32_e64 v14, 0, -1, s[0:1]
	v_cmp_le_u32_e64 s[0:1], s24, v13
	v_cndmask_b32_e64 v13, 0, -1, s[0:1]
	v_cmp_eq_u32_e64 s[0:1], s25, v12
	v_cndmask_b32_e64 v12, v14, v13, s[0:1]
	v_add_co_u32_e64 v13, s[0:1], 2, v8
	v_addc_co_u32_e64 v14, s[0:1], 0, v11, s[0:1]
	v_add_co_u32_e64 v15, s[0:1], 1, v8
	v_addc_co_u32_e64 v16, s[0:1], 0, v11, s[0:1]
	v_subb_co_u32_e32 v4, vcc, v10, v4, vcc
	v_cmp_ne_u32_e64 s[0:1], 0, v12
	v_cmp_le_u32_e32 vcc, s25, v4
	v_cndmask_b32_e64 v12, v16, v14, s[0:1]
	v_cndmask_b32_e64 v14, 0, -1, vcc
	v_cmp_le_u32_e32 vcc, s24, v3
	v_cndmask_b32_e64 v3, 0, -1, vcc
	v_cmp_eq_u32_e32 vcc, s25, v4
	v_cndmask_b32_e32 v3, v14, v3, vcc
	v_cmp_ne_u32_e32 vcc, 0, v3
	v_cndmask_b32_e64 v3, v15, v13, s[0:1]
	v_cndmask_b32_e32 v4, v11, v12, vcc
	v_cndmask_b32_e32 v3, v8, v3, vcc
.LBB0_4:                                ;   in Loop: Header=BB0_2 Depth=1
	s_andn2_saveexec_b64 s[0:1], s[26:27]
	s_cbranch_execz .LBB0_6
; %bb.5:                                ;   in Loop: Header=BB0_2 Depth=1
	v_cvt_f32_u32_e32 v3, s24
	s_sub_i32 s26, 0, s24
	v_rcp_iflag_f32_e32 v3, v3
	v_mul_f32_e32 v3, 0x4f7ffffe, v3
	v_cvt_u32_f32_e32 v3, v3
	v_mul_lo_u32 v4, s26, v3
	v_mul_hi_u32 v4, v3, v4
	v_add_u32_e32 v3, v3, v4
	v_mul_hi_u32 v3, v9, v3
	v_mul_lo_u32 v4, v3, s24
	v_add_u32_e32 v8, 1, v3
	v_sub_u32_e32 v4, v9, v4
	v_subrev_u32_e32 v11, s24, v4
	v_cmp_le_u32_e32 vcc, s24, v4
	v_cndmask_b32_e32 v4, v4, v11, vcc
	v_cndmask_b32_e32 v3, v3, v8, vcc
	v_add_u32_e32 v8, 1, v3
	v_cmp_le_u32_e32 vcc, s24, v4
	v_cndmask_b32_e32 v3, v3, v8, vcc
	v_mov_b32_e32 v4, v7
.LBB0_6:                                ;   in Loop: Header=BB0_2 Depth=1
	s_or_b64 exec, exec, s[0:1]
	v_mul_lo_u32 v8, v4, s24
	v_mul_lo_u32 v13, v3, s25
	v_mad_u64_u32 v[11:12], s[0:1], v3, s24, 0
	s_load_dwordx2 s[0:1], s[6:7], 0x0
	s_load_dwordx2 s[24:25], s[2:3], 0x0
	v_add3_u32 v8, v12, v13, v8
	v_sub_co_u32_e32 v9, vcc, v9, v11
	v_subb_co_u32_e32 v8, vcc, v10, v8, vcc
	s_waitcnt lgkmcnt(0)
	v_mul_lo_u32 v10, s0, v8
	v_mul_lo_u32 v11, s1, v9
	v_mad_u64_u32 v[5:6], s[0:1], s0, v9, v[5:6]
	v_mul_lo_u32 v8, s24, v8
	v_mul_lo_u32 v12, s25, v9
	v_mad_u64_u32 v[1:2], s[0:1], s24, v9, v[1:2]
	s_add_u32 s22, s22, 1
	s_addc_u32 s23, s23, 0
	s_add_u32 s2, s2, 8
	v_add3_u32 v2, v12, v2, v8
	s_addc_u32 s3, s3, 0
	v_mov_b32_e32 v8, s14
	s_add_u32 s6, s6, 8
	v_mov_b32_e32 v9, s15
	s_addc_u32 s7, s7, 0
	v_cmp_ge_u64_e32 vcc, s[22:23], v[8:9]
	s_add_u32 s20, s20, 8
	v_add3_u32 v6, v11, v6, v10
	s_addc_u32 s21, s21, 0
	s_cbranch_vccnz .LBB0_9
; %bb.7:                                ;   in Loop: Header=BB0_2 Depth=1
	v_mov_b32_e32 v10, v4
	v_mov_b32_e32 v9, v3
	s_branch .LBB0_2
.LBB0_8:
	v_mov_b32_e32 v1, v5
	v_mov_b32_e32 v3, v9
	;; [unrolled: 1-line block ×4, first 2 shown]
.LBB0_9:
	s_load_dwordx2 s[4:5], s[4:5], 0x28
	s_lshl_b64 s[6:7], s[14:15], 3
	s_add_u32 s2, s18, s6
	s_addc_u32 s3, s19, s7
                                        ; implicit-def: $vgpr38
	s_waitcnt lgkmcnt(0)
	v_cmp_gt_u64_e64 s[0:1], s[4:5], v[3:4]
	v_cmp_le_u64_e32 vcc, s[4:5], v[3:4]
	s_and_saveexec_b64 s[4:5], vcc
	s_xor_b64 s[4:5], exec, s[4:5]
; %bb.10:
	s_mov_b32 s14, 0x1234568
	v_mul_hi_u32 v5, v0, s14
	v_mul_u32_u24_e32 v5, 0xe1, v5
	v_sub_u32_e32 v38, v0, v5
                                        ; implicit-def: $vgpr0
                                        ; implicit-def: $vgpr5_vgpr6
; %bb.11:
	s_or_saveexec_b64 s[4:5], s[4:5]
                                        ; implicit-def: $vgpr19
                                        ; implicit-def: $vgpr17
                                        ; implicit-def: $vgpr21
                                        ; implicit-def: $vgpr15
                                        ; implicit-def: $vgpr9
                                        ; implicit-def: $vgpr13
                                        ; implicit-def: $vgpr33
                                        ; implicit-def: $vgpr31
                                        ; implicit-def: $vgpr11
                                        ; implicit-def: $vgpr37
                                        ; implicit-def: $vgpr23
                                        ; implicit-def: $vgpr29
                                        ; implicit-def: $vgpr27
                                        ; implicit-def: $vgpr25
                                        ; implicit-def: $vgpr35
	s_xor_b64 exec, exec, s[4:5]
	s_cbranch_execz .LBB0_13
; %bb.12:
	s_add_u32 s6, s16, s6
	s_addc_u32 s7, s17, s7
	s_load_dwordx2 s[6:7], s[6:7], 0x0
	s_mov_b32 s14, 0x1234568
	v_mul_hi_u32 v9, v0, s14
	v_lshlrev_b64 v[5:6], 3, v[5:6]
	s_waitcnt lgkmcnt(0)
	v_mul_lo_u32 v10, s7, v3
	v_mul_lo_u32 v11, s6, v4
	v_mad_u64_u32 v[7:8], s[6:7], s6, v3, 0
	v_mul_u32_u24_e32 v9, 0xe1, v9
	v_sub_u32_e32 v38, v0, v9
	v_add3_u32 v8, v8, v11, v10
	v_lshlrev_b64 v[7:8], 3, v[7:8]
	v_mov_b32_e32 v0, s9
	v_add_co_u32_e32 v7, vcc, s8, v7
	v_addc_co_u32_e32 v0, vcc, v0, v8, vcc
	v_add_co_u32_e32 v5, vcc, v7, v5
	v_addc_co_u32_e32 v0, vcc, v0, v6, vcc
	v_lshlrev_b32_e32 v6, 3, v38
	v_add_co_u32_e32 v5, vcc, v5, v6
	v_addc_co_u32_e32 v6, vcc, 0, v0, vcc
	s_movk_i32 s6, 0x1000
	v_add_co_u32_e32 v39, vcc, s6, v5
	v_addc_co_u32_e32 v40, vcc, 0, v6, vcc
	s_movk_i32 s6, 0x2000
	;; [unrolled: 3-line block ×5, first 2 shown]
	v_add_co_u32_e32 v47, vcc, s6, v5
	v_addc_co_u32_e32 v48, vcc, 0, v6, vcc
	v_add_co_u32_e32 v49, vcc, 0x6000, v5
	global_load_dwordx2 v[10:11], v[39:40], off offset:3104
	global_load_dwordx2 v[12:13], v[45:46], off offset:2920
	v_addc_co_u32_e32 v50, vcc, 0, v6, vcc
	global_load_dwordx2 v[34:35], v[5:6], off
	global_load_dwordx2 v[36:37], v[5:6], off offset:1800
	global_load_dwordx2 v[24:25], v[39:40], off offset:1304
	;; [unrolled: 1-line block ×12, first 2 shown]
.LBB0_13:
	s_or_b64 exec, exec, s[4:5]
	s_waitcnt vmcnt(4)
	v_add_f32_e32 v5, v28, v26
	v_fma_f32 v5, -0.5, v5, v34
	v_sub_f32_e32 v7, v24, v26
	v_sub_f32_e32 v39, v22, v28
	v_add_f32_e32 v0, v24, v34
	v_sub_f32_e32 v6, v25, v23
	v_add_f32_e32 v7, v39, v7
	v_mov_b32_e32 v39, v5
	v_add_f32_e32 v0, v26, v0
	v_fmac_f32_e32 v39, 0x3f737871, v6
	v_sub_f32_e32 v40, v27, v29
	v_add_f32_e32 v0, v28, v0
	v_fmac_f32_e32 v39, 0x3f167918, v40
	v_add_f32_e32 v0, v22, v0
	v_fmac_f32_e32 v39, 0x3e9e377a, v7
	v_mad_u32_u24 v41, v38, 20, 0
	s_waitcnt vmcnt(2)
	v_add_f32_e32 v42, v32, v30
	ds_write2_b32 v41, v0, v39 offset1:1
	v_sub_f32_e32 v0, v10, v30
	v_sub_f32_e32 v39, v12, v32
	v_fma_f32 v42, -0.5, v42, v36
	v_add_f32_e32 v0, v39, v0
	v_add_f32_e32 v39, v10, v36
	v_sub_f32_e32 v43, v11, v13
	v_mov_b32_e32 v44, v42
	v_add_f32_e32 v39, v30, v39
	v_fmac_f32_e32 v44, 0x3f737871, v43
	v_sub_f32_e32 v45, v31, v33
	v_add_f32_e32 v39, v32, v39
	v_fmac_f32_e32 v44, 0x3f167918, v45
	v_add_f32_e32 v39, v12, v39
	v_fmac_f32_e32 v44, 0x3e9e377a, v0
	v_add_u32_e32 v46, 0x1194, v41
	s_waitcnt vmcnt(1)
	v_add_f32_e32 v47, v16, v20
	ds_write2_b32 v46, v39, v44 offset1:1
	v_sub_f32_e32 v39, v14, v20
	s_waitcnt vmcnt(0)
	v_sub_f32_e32 v44, v18, v16
	v_fma_f32 v47, -0.5, v47, v8
	v_add_f32_e32 v39, v44, v39
	v_add_f32_e32 v44, v14, v8
	v_sub_f32_e32 v48, v15, v19
	v_mov_b32_e32 v49, v47
	v_add_f32_e32 v44, v20, v44
	v_fmac_f32_e32 v49, 0x3f737871, v48
	v_sub_f32_e32 v50, v21, v17
	v_fmac_f32_e32 v5, 0xbf737871, v6
	v_add_f32_e32 v44, v16, v44
	v_fmac_f32_e32 v49, 0x3f167918, v50
	v_fmac_f32_e32 v5, 0xbf167918, v40
	v_add_f32_e32 v44, v18, v44
	v_fmac_f32_e32 v49, 0x3e9e377a, v39
	v_add_u32_e32 v61, 0x2328, v41
	v_fmac_f32_e32 v5, 0x3e9e377a, v7
	v_add_f32_e32 v7, v22, v24
	ds_write2_b32 v61, v44, v49 offset1:1
	v_fmac_f32_e32 v34, -0.5, v7
	v_sub_f32_e32 v7, v26, v24
	v_sub_f32_e32 v44, v28, v22
	v_fmac_f32_e32 v42, 0xbf737871, v43
	v_add_f32_e32 v7, v44, v7
	v_mov_b32_e32 v44, v34
	v_fmac_f32_e32 v42, 0xbf167918, v45
	v_fmac_f32_e32 v44, 0xbf737871, v40
	;; [unrolled: 1-line block ×4, first 2 shown]
	v_add_f32_e32 v0, v12, v10
	v_fmac_f32_e32 v44, 0x3f167918, v6
	v_fmac_f32_e32 v34, 0xbf167918, v6
	v_fmac_f32_e32 v36, -0.5, v0
	v_sub_f32_e32 v0, v30, v10
	v_sub_f32_e32 v6, v32, v12
	v_add_f32_e32 v0, v6, v0
	v_mov_b32_e32 v6, v36
	v_fmac_f32_e32 v6, 0xbf737871, v45
	v_fmac_f32_e32 v36, 0x3f737871, v45
	;; [unrolled: 1-line block ×6, first 2 shown]
	v_add_f32_e32 v0, v33, v31
	v_fma_f32 v40, -0.5, v0, v37
	v_add_f32_e32 v0, v13, v11
	v_add_f32_e32 v43, v11, v37
	v_fmac_f32_e32 v37, -0.5, v0
	v_sub_f32_e32 v45, v30, v32
	v_mov_b32_e32 v49, v37
	v_fmac_f32_e32 v44, 0x3e9e377a, v7
	v_fmac_f32_e32 v34, 0x3e9e377a, v7
	v_sub_f32_e32 v0, v31, v11
	v_sub_f32_e32 v7, v33, v13
	v_fmac_f32_e32 v49, 0x3f737871, v45
	v_sub_f32_e32 v62, v10, v12
	v_fmac_f32_e32 v37, 0xbf737871, v45
	v_add_f32_e32 v0, v7, v0
	v_fmac_f32_e32 v49, 0xbf167918, v62
	v_fmac_f32_e32 v37, 0x3f167918, v62
	;; [unrolled: 1-line block ×4, first 2 shown]
	v_add_f32_e32 v0, v18, v14
	v_fmac_f32_e32 v8, -0.5, v0
	v_sub_f32_e32 v0, v20, v14
	v_sub_f32_e32 v7, v16, v18
	v_fmac_f32_e32 v47, 0xbf737871, v48
	v_add_f32_e32 v0, v7, v0
	v_mov_b32_e32 v7, v8
	v_fmac_f32_e32 v47, 0xbf167918, v50
	v_fmac_f32_e32 v7, 0xbf737871, v50
	;; [unrolled: 1-line block ×6, first 2 shown]
	v_add_u32_e32 v39, 0x119c, v41
	v_fmac_f32_e32 v7, 0x3e9e377a, v0
	v_fmac_f32_e32 v8, 0x3e9e377a, v0
	ds_write2_b32 v41, v44, v34 offset0:2 offset1:3
	ds_write_b32 v41, v5 offset:16
	ds_write2_b32 v39, v6, v36 offset1:1
	ds_write_b32 v41, v42 offset:4516
	v_add_u32_e32 v42, 0x2330, v41
	v_lshlrev_b32_e32 v0, 4, v38
	ds_write2_b32 v42, v7, v8 offset1:1
	ds_write_b32 v41, v47 offset:9016
	v_sub_u32_e32 v0, v41, v0
	s_load_dwordx2 s[2:3], s[2:3], 0x0
	s_waitcnt lgkmcnt(0)
	s_barrier
	v_add_u32_e32 v30, 0x700, v0
	v_add_u32_e32 v10, 0x1500, v0
	;; [unrolled: 1-line block ×6, first 2 shown]
	ds_read_b32 v63, v0 offset:12600
	ds_read2_b32 v[7:8], v0 offset1:225
	ds_read2_b32 v[5:6], v30 offset0:2 offset1:227
	ds_read2_b32 v[51:52], v10 offset0:6 offset1:231
	;; [unrolled: 1-line block ×6, first 2 shown]
	s_waitcnt lgkmcnt(0)
	s_barrier
	ds_write2_b32 v39, v49, v37 offset1:1
	v_add_f32_e32 v37, v29, v27
	v_add_f32_e32 v44, v23, v25
	v_fma_f32 v37, -0.5, v37, v35
	v_add_f32_e32 v39, v25, v35
	v_fmac_f32_e32 v35, -0.5, v44
	v_sub_f32_e32 v26, v26, v28
	v_mov_b32_e32 v28, v35
	v_sub_f32_e32 v44, v27, v25
	v_sub_f32_e32 v47, v29, v23
	v_fmac_f32_e32 v28, 0x3f737871, v26
	v_sub_f32_e32 v22, v24, v22
	v_fmac_f32_e32 v35, 0xbf737871, v26
	v_add_f32_e32 v44, v47, v44
	v_fmac_f32_e32 v28, 0xbf167918, v22
	v_fmac_f32_e32 v35, 0x3f167918, v22
	v_add_f32_e32 v24, v31, v43
	v_fmac_f32_e32 v28, 0x3e9e377a, v44
	v_fmac_f32_e32 v35, 0x3e9e377a, v44
	v_add_f32_e32 v24, v33, v24
	ds_write2_b32 v41, v28, v35 offset0:2 offset1:3
	v_sub_f32_e32 v28, v13, v33
	v_add_f32_e32 v13, v13, v24
	v_mov_b32_e32 v24, v40
	v_sub_f32_e32 v11, v11, v31
	v_fmac_f32_e32 v24, 0xbf737871, v62
	v_add_f32_e32 v11, v28, v11
	v_fmac_f32_e32 v24, 0xbf167918, v45
	v_fmac_f32_e32 v24, 0x3e9e377a, v11
	ds_write2_b32 v46, v13, v24 offset1:1
	v_add_f32_e32 v24, v27, v39
	v_add_f32_e32 v24, v29, v24
	v_sub_f32_e32 v13, v25, v27
	v_sub_f32_e32 v25, v23, v29
	v_add_f32_e32 v23, v23, v24
	v_add_f32_e32 v24, v15, v9
	v_add_f32_e32 v24, v21, v24
	v_sub_f32_e32 v14, v14, v18
	v_add_f32_e32 v18, v17, v24
	v_add_f32_e32 v27, v17, v21
	v_sub_f32_e32 v16, v20, v16
	v_sub_f32_e32 v20, v15, v21
	;; [unrolled: 1-line block ×3, first 2 shown]
	v_add_f32_e32 v15, v19, v15
	v_sub_f32_e32 v24, v19, v17
	v_sub_f32_e32 v17, v17, v19
	v_add_f32_e32 v18, v19, v18
	v_mov_b32_e32 v19, v37
	v_fmac_f32_e32 v19, 0xbf737871, v22
	v_fmac_f32_e32 v37, 0x3f737871, v22
	v_add_f32_e32 v13, v25, v13
	v_fmac_f32_e32 v19, 0xbf167918, v26
	v_fmac_f32_e32 v37, 0x3f167918, v26
	;; [unrolled: 1-line block ×6, first 2 shown]
	v_fma_f32 v13, -0.5, v27, v9
	v_fmac_f32_e32 v40, 0x3e9e377a, v11
	v_add_f32_e32 v11, v24, v20
	v_mov_b32_e32 v20, v13
	v_fmac_f32_e32 v20, 0xbf737871, v14
	v_fmac_f32_e32 v13, 0x3f737871, v14
	v_fmac_f32_e32 v9, -0.5, v15
	v_fmac_f32_e32 v20, 0xbf167918, v16
	v_fmac_f32_e32 v13, 0x3f167918, v16
	v_mov_b32_e32 v15, v9
	v_fmac_f32_e32 v9, 0xbf737871, v16
	v_fmac_f32_e32 v20, 0x3e9e377a, v11
	;; [unrolled: 1-line block ×3, first 2 shown]
	v_add_f32_e32 v11, v17, v21
	v_fmac_f32_e32 v15, 0x3f737871, v16
	v_fmac_f32_e32 v9, 0x3f167918, v14
	;; [unrolled: 1-line block ×4, first 2 shown]
	ds_write2_b32 v41, v23, v19 offset1:1
	v_add_u32_e32 v23, 0x1c2, v38
	s_mov_b32 s4, 0xcccd
	v_fmac_f32_e32 v15, 0x3e9e377a, v11
	ds_write_b32 v41, v37 offset:16
	ds_write_b32 v41, v40 offset:4516
	ds_write2_b32 v61, v18, v20 offset1:1
	ds_write2_b32 v42, v15, v9 offset1:1
	ds_write_b32 v41, v13 offset:9016
	v_mul_u32_u24_sdwa v9, v23, s4 dst_sel:DWORD dst_unused:UNUSED_PAD src0_sel:WORD_0 src1_sel:DWORD
	v_lshrrev_b32_e32 v29, 18, v9
	v_mul_lo_u16_e32 v9, 5, v29
	v_sub_u16_e32 v31, v23, v9
	v_lshlrev_b32_e32 v11, 5, v31
	s_waitcnt lgkmcnt(0)
	s_barrier
	global_load_dwordx4 v[17:20], v11, s[12:13] offset:16
	v_add_u32_e32 v24, 0xe1, v38
	v_mul_u32_u24_sdwa v9, v24, s4 dst_sel:DWORD dst_unused:UNUSED_PAD src0_sel:WORD_0 src1_sel:DWORD
	v_lshrrev_b32_e32 v33, 18, v9
	v_mul_lo_u16_e32 v9, 5, v33
	v_sub_u16_e32 v35, v24, v9
	v_lshlrev_b32_e32 v13, 5, v35
	global_load_dwordx4 v[25:28], v13, s[12:13] offset:16
	s_movk_i32 s4, 0xcd
	v_mul_lo_u16_sdwa v9, v38, s4 dst_sel:DWORD dst_unused:UNUSED_PAD src0_sel:BYTE_0 src1_sel:DWORD
	v_lshrrev_b16_e32 v37, 10, v9
	v_mul_lo_u16_e32 v9, 5, v37
	v_sub_u16_e32 v62, v38, v9
	v_mov_b32_e32 v9, 5
	v_lshlrev_b32_sdwa v61, v9, v62 dst_sel:DWORD dst_unused:UNUSED_PAD src0_sel:DWORD src1_sel:BYTE_0
	global_load_dwordx4 v[39:42], v61, s[12:13] offset:16
	global_load_dwordx4 v[43:46], v11, s[12:13]
	ds_read_b32 v11, v0 offset:12600
	ds_read2_b32 v[21:22], v36 offset0:10 offset1:235
	global_load_dwordx4 v[47:50], v13, s[12:13]
	s_movk_i32 s4, 0x47af
	s_movk_i32 s5, 0x177
	s_waitcnt vmcnt(4) lgkmcnt(1)
	v_mul_f32_e32 v13, v11, v20
	v_fma_f32 v15, v63, v19, -v13
	v_mul_f32_e32 v13, v63, v20
	v_fmac_f32_e32 v13, v11, v19
	s_waitcnt lgkmcnt(0)
	v_mul_f32_e32 v11, v22, v18
	v_mul_f32_e32 v14, v60, v18
	v_fma_f32 v16, v60, v17, -v11
	v_fmac_f32_e32 v14, v22, v17
	global_load_dwordx4 v[17:20], v61, s[12:13]
	ds_read2_b32 v[60:61], v34 offset0:12 offset1:237
	s_waitcnt vmcnt(4)
	v_mul_f32_e32 v64, v59, v26
	v_mul_f32_e32 v11, v21, v26
	v_fmac_f32_e32 v64, v21, v25
	ds_read2_b32 v[21:22], v32 offset0:8 offset1:233
	v_fma_f32 v63, v59, v25, -v11
	ds_read2_b32 v[25:26], v12 offset0:4 offset1:229
	s_waitcnt lgkmcnt(2)
	v_mul_f32_e32 v11, v61, v28
	v_fma_f32 v65, v56, v27, -v11
	v_mul_f32_e32 v28, v56, v28
	s_waitcnt vmcnt(3)
	v_mul_f32_e32 v11, v60, v42
	v_fmac_f32_e32 v28, v61, v27
	v_fma_f32 v27, v55, v41, -v11
	v_mul_f32_e32 v42, v55, v42
	s_waitcnt lgkmcnt(1)
	v_mul_f32_e32 v11, v22, v40
	v_fmac_f32_e32 v42, v60, v41
	v_fma_f32 v41, v54, v39, -v11
	v_mul_f32_e32 v40, v54, v40
	s_waitcnt vmcnt(2)
	v_mul_f32_e32 v11, v21, v46
	v_mul_f32_e32 v46, v53, v46
	v_fmac_f32_e32 v40, v22, v39
	v_fma_f32 v39, v53, v45, -v11
	v_fmac_f32_e32 v46, v21, v45
	s_waitcnt lgkmcnt(0)
	v_mul_f32_e32 v11, v26, v44
	ds_read2_b32 v[21:22], v10 offset0:6 offset1:231
	v_fma_f32 v45, v58, v43, -v11
	v_mul_f32_e32 v44, v58, v44
	s_waitcnt vmcnt(1)
	v_mul_f32_e32 v11, v25, v48
	v_mul_f32_e32 v48, v57, v48
	v_fmac_f32_e32 v44, v26, v43
	v_fmac_f32_e32 v48, v25, v47
	ds_read2_b32 v[25:26], v30 offset0:2 offset1:227
	v_fma_f32 v43, v57, v47, -v11
	s_waitcnt lgkmcnt(1)
	v_mul_f32_e32 v11, v22, v50
	v_fma_f32 v47, v52, v49, -v11
	v_mul_f32_e32 v50, v52, v50
	v_fmac_f32_e32 v50, v22, v49
	s_waitcnt vmcnt(0)
	v_mul_f32_e32 v11, v21, v20
	v_fma_f32 v22, v51, v19, -v11
	v_mul_f32_e32 v49, v51, v20
	s_waitcnt lgkmcnt(0)
	v_mul_f32_e32 v11, v26, v18
	v_fmac_f32_e32 v49, v21, v19
	v_fma_f32 v19, v6, v17, -v11
	v_mul_f32_e32 v51, v6, v18
	v_sub_f32_e32 v6, v19, v22
	v_sub_f32_e32 v11, v27, v41
	v_add_f32_e32 v6, v6, v11
	v_mov_b32_e32 v11, 2
	v_fmac_f32_e32 v51, v26, v17
	v_lshlrev_b32_sdwa v17, v11, v62 dst_sel:DWORD dst_unused:UNUSED_PAD src0_sel:DWORD src1_sel:BYTE_0
	v_mul_u32_u24_e32 v18, 0x64, v37
	v_add3_u32 v26, 0, v18, v17
	v_add_f32_e32 v17, v7, v19
	v_add_f32_e32 v17, v17, v22
	v_add_f32_e32 v17, v17, v41
	v_add_f32_e32 v20, v17, v27
	v_add_f32_e32 v17, v22, v41
	v_fma_f32 v21, -0.5, v17, v7
	v_sub_f32_e32 v37, v51, v42
	v_mov_b32_e32 v52, v21
	v_fmac_f32_e32 v52, 0x3f737871, v37
	v_sub_f32_e32 v53, v49, v40
	v_fmac_f32_e32 v52, 0x3f167918, v53
	v_fmac_f32_e32 v52, 0x3e9e377a, v6
	ds_read2_b32 v[17:18], v0 offset1:225
	s_waitcnt lgkmcnt(0)
	s_barrier
	ds_write2_b32 v26, v20, v52 offset1:5
	v_sub_f32_e32 v20, v22, v19
	v_sub_f32_e32 v52, v41, v27
	v_add_f32_e32 v20, v20, v52
	v_add_f32_e32 v52, v19, v27
	v_fma_f32 v7, -0.5, v52, v7
	v_mov_b32_e32 v52, v7
	v_fmac_f32_e32 v52, 0xbf737871, v53
	v_fmac_f32_e32 v7, 0x3f737871, v53
	;; [unrolled: 1-line block ×9, first 2 shown]
	v_add_f32_e32 v6, v47, v63
	v_add_f32_e32 v20, v43, v65
	ds_write2_b32 v26, v52, v7 offset0:10 offset1:15
	v_fma_f32 v6, -0.5, v6, v8
	v_add_f32_e32 v7, v8, v43
	v_fmac_f32_e32 v8, -0.5, v20
	v_sub_f32_e32 v20, v47, v43
	v_sub_f32_e32 v37, v63, v65
	v_add_f32_e32 v20, v20, v37
	v_sub_f32_e32 v37, v50, v64
	v_mov_b32_e32 v52, v8
	v_fmac_f32_e32 v52, 0xbf737871, v37
	v_sub_f32_e32 v53, v48, v28
	v_fmac_f32_e32 v8, 0x3f737871, v37
	v_fmac_f32_e32 v52, 0x3f167918, v53
	;; [unrolled: 1-line block ×5, first 2 shown]
	ds_write_b32 v26, v21 offset:80
	v_lshlrev_b32_e32 v20, 2, v35
	v_mul_u32_u24_e32 v21, 0x64, v33
	v_add3_u32 v33, 0, v21, v20
	ds_write2_b32 v33, v52, v8 offset0:10 offset1:15
	v_sub_f32_e32 v8, v43, v47
	v_sub_f32_e32 v20, v65, v63
	v_add_f32_e32 v8, v8, v20
	v_mov_b32_e32 v20, v6
	v_add_f32_e32 v7, v7, v47
	v_fmac_f32_e32 v20, 0x3f737871, v53
	v_add_f32_e32 v7, v7, v63
	v_fmac_f32_e32 v20, 0x3f167918, v37
	;; [unrolled: 2-line block ×3, first 2 shown]
	v_fmac_f32_e32 v6, 0xbf737871, v53
	ds_write2_b32 v33, v7, v20 offset1:5
	v_fmac_f32_e32 v6, 0xbf167918, v37
	v_add_f32_e32 v7, v39, v16
	v_add_f32_e32 v20, v45, v15
	v_fmac_f32_e32 v6, 0x3e9e377a, v8
	v_fma_f32 v7, -0.5, v7, v5
	v_add_f32_e32 v8, v5, v45
	v_fmac_f32_e32 v5, -0.5, v20
	v_sub_f32_e32 v20, v39, v45
	v_sub_f32_e32 v21, v16, v15
	v_add_f32_e32 v20, v20, v21
	v_sub_f32_e32 v21, v46, v14
	v_mov_b32_e32 v35, v5
	v_fmac_f32_e32 v35, 0xbf737871, v21
	v_sub_f32_e32 v37, v44, v13
	v_fmac_f32_e32 v5, 0x3f737871, v21
	v_fmac_f32_e32 v35, 0x3f167918, v37
	;; [unrolled: 1-line block ×5, first 2 shown]
	ds_write_b32 v33, v6 offset:80
	v_lshlrev_b32_e32 v6, 2, v31
	v_mul_u32_u24_e32 v20, 0x64, v29
	v_add3_u32 v29, 0, v20, v6
	ds_write2_b32 v29, v35, v5 offset0:10 offset1:15
	v_sub_f32_e32 v5, v45, v39
	v_sub_f32_e32 v6, v15, v16
	v_add_f32_e32 v5, v5, v6
	v_add_f32_e32 v6, v8, v39
	v_mov_b32_e32 v8, v7
	v_fmac_f32_e32 v8, 0x3f737871, v37
	v_fmac_f32_e32 v7, 0xbf737871, v37
	;; [unrolled: 1-line block ×6, first 2 shown]
	v_add_f32_e32 v5, v17, v51
	v_add_f32_e32 v5, v5, v49
	v_add_f32_e32 v5, v5, v40
	v_add_f32_e32 v31, v5, v42
	v_add_f32_e32 v5, v49, v40
	v_add_f32_e32 v6, v6, v16
	v_fma_f32 v35, -0.5, v5, v17
	v_add_f32_e32 v6, v6, v15
	v_sub_f32_e32 v19, v19, v27
	v_mov_b32_e32 v37, v35
	ds_write2_b32 v29, v6, v8 offset1:5
	v_sub_f32_e32 v22, v22, v41
	v_sub_f32_e32 v6, v51, v49
	;; [unrolled: 1-line block ×3, first 2 shown]
	v_fmac_f32_e32 v37, 0xbf737871, v19
	v_add_f32_e32 v27, v6, v8
	v_fmac_f32_e32 v37, 0xbf167918, v22
	v_fmac_f32_e32 v37, 0x3e9e377a, v27
	ds_write_b32 v29, v7 offset:80
	s_waitcnt lgkmcnt(0)
	s_barrier
	ds_read_b32 v66, v0 offset:12600
	ds_read2_b32 v[7:8], v0 offset1:225
	ds_read2_b32 v[5:6], v30 offset0:2 offset1:227
	ds_read2_b32 v[20:21], v10 offset0:6 offset1:231
	;; [unrolled: 1-line block ×6, first 2 shown]
	s_waitcnt lgkmcnt(0)
	s_barrier
	ds_write2_b32 v26, v31, v37 offset1:5
	v_add_f32_e32 v37, v51, v42
	v_fma_f32 v17, -0.5, v37, v17
	v_mov_b32_e32 v37, v17
	v_sub_f32_e32 v31, v49, v51
	v_sub_f32_e32 v40, v40, v42
	v_fmac_f32_e32 v37, 0x3f737871, v22
	v_fmac_f32_e32 v17, 0xbf737871, v22
	;; [unrolled: 1-line block ×3, first 2 shown]
	v_add_f32_e32 v31, v31, v40
	v_fmac_f32_e32 v37, 0xbf167918, v19
	v_fmac_f32_e32 v17, 0x3f167918, v19
	;; [unrolled: 1-line block ×6, first 2 shown]
	v_add_f32_e32 v22, v50, v64
	v_add_f32_e32 v27, v48, v28
	ds_write2_b32 v26, v37, v17 offset0:10 offset1:15
	ds_write_b32 v26, v35 offset:80
	v_fma_f32 v22, -0.5, v22, v18
	v_add_f32_e32 v26, v18, v48
	v_fmac_f32_e32 v18, -0.5, v27
	v_sub_f32_e32 v27, v50, v48
	v_sub_f32_e32 v31, v64, v28
	;; [unrolled: 1-line block ×3, first 2 shown]
	v_add_f32_e32 v27, v27, v31
	v_mov_b32_e32 v31, v18
	v_sub_f32_e32 v17, v43, v65
	v_fmac_f32_e32 v31, 0x3f737871, v19
	v_fmac_f32_e32 v18, 0xbf737871, v19
	;; [unrolled: 1-line block ×6, first 2 shown]
	ds_write2_b32 v33, v31, v18 offset0:10 offset1:15
	v_add_f32_e32 v18, v26, v50
	v_sub_f32_e32 v26, v48, v50
	v_sub_f32_e32 v27, v28, v64
	v_add_f32_e32 v26, v26, v27
	v_mov_b32_e32 v27, v22
	v_fmac_f32_e32 v27, 0xbf737871, v17
	v_add_f32_e32 v18, v18, v64
	v_fmac_f32_e32 v27, 0xbf167918, v19
	v_add_f32_e32 v18, v18, v28
	v_fmac_f32_e32 v27, 0x3e9e377a, v26
	ds_write2_b32 v33, v18, v27 offset1:5
	v_fmac_f32_e32 v22, 0x3f737871, v17
	v_sub_f32_e32 v17, v44, v46
	v_sub_f32_e32 v18, v13, v14
	v_add_f32_e32 v17, v17, v18
	v_add_f32_e32 v18, v46, v14
	v_fma_f32 v18, -0.5, v18, v25
	v_fmac_f32_e32 v22, 0x3f167918, v19
	v_sub_f32_e32 v15, v45, v15
	v_mov_b32_e32 v19, v18
	v_sub_f32_e32 v16, v39, v16
	v_fmac_f32_e32 v19, 0xbf737871, v15
	v_fmac_f32_e32 v18, 0x3f737871, v15
	;; [unrolled: 1-line block ×6, first 2 shown]
	v_add_f32_e32 v17, v25, v44
	v_fmac_f32_e32 v22, 0x3e9e377a, v26
	v_add_f32_e32 v26, v44, v13
	v_add_f32_e32 v17, v17, v46
	v_fmac_f32_e32 v25, -0.5, v26
	v_add_f32_e32 v17, v17, v14
	v_add_f32_e32 v17, v17, v13
	v_sub_f32_e32 v13, v14, v13
	v_mov_b32_e32 v14, v25
	v_sub_f32_e32 v26, v46, v44
	v_fmac_f32_e32 v14, 0x3f737871, v16
	v_fmac_f32_e32 v25, 0xbf737871, v16
	v_add_f32_e32 v13, v26, v13
	v_fmac_f32_e32 v14, 0xbf167918, v15
	v_fmac_f32_e32 v25, 0x3f167918, v15
	;; [unrolled: 1-line block ×4, first 2 shown]
	v_mul_u32_u24_sdwa v13, v23, s4 dst_sel:DWORD dst_unused:UNUSED_PAD src0_sel:WORD_0 src1_sel:DWORD
	ds_write_b32 v33, v22 offset:80
	ds_write2_b32 v29, v17, v19 offset1:5
	ds_write2_b32 v29, v14, v25 offset0:10 offset1:15
	ds_write_b32 v29, v18 offset:80
	v_sub_u16_sdwa v14, v23, v13 dst_sel:DWORD dst_unused:UNUSED_PAD src0_sel:DWORD src1_sel:WORD_1
	v_lshrrev_b16_e32 v14, 1, v14
	v_add_u16_sdwa v13, v14, v13 dst_sel:DWORD dst_unused:UNUSED_PAD src0_sel:DWORD src1_sel:WORD_1
	v_lshrrev_b16_e32 v22, 4, v13
	v_mul_lo_u16_e32 v13, 25, v22
	v_sub_u16_e32 v29, v23, v13
	v_lshlrev_b32_e32 v13, 5, v29
	s_waitcnt lgkmcnt(0)
	s_barrier
	global_load_dwordx4 v[16:19], v13, s[12:13] offset:176
	v_mul_u32_u24_sdwa v14, v24, s4 dst_sel:DWORD dst_unused:UNUSED_PAD src0_sel:WORD_0 src1_sel:DWORD
	v_sub_u16_sdwa v15, v24, v14 dst_sel:DWORD dst_unused:UNUSED_PAD src0_sel:DWORD src1_sel:WORD_1
	v_lshrrev_b16_e32 v15, 1, v15
	v_add_u16_sdwa v14, v15, v14 dst_sel:DWORD dst_unused:UNUSED_PAD src0_sel:DWORD src1_sel:WORD_1
	v_lshrrev_b16_e32 v31, 4, v14
	v_mul_lo_u16_e32 v14, 25, v31
	v_sub_u16_e32 v33, v24, v14
	v_lshlrev_b32_e32 v14, 5, v33
	global_load_dwordx4 v[25:28], v14, s[12:13] offset:176
	v_mov_b32_e32 v15, 41
	v_mul_lo_u16_sdwa v15, v38, v15 dst_sel:DWORD dst_unused:UNUSED_PAD src0_sel:BYTE_0 src1_sel:DWORD
	v_lshrrev_b16_e32 v37, 10, v15
	v_mul_lo_u16_e32 v15, 25, v37
	v_sub_u16_e32 v63, v38, v15
	v_lshlrev_b32_sdwa v9, v9, v63 dst_sel:DWORD dst_unused:UNUSED_PAD src0_sel:DWORD src1_sel:BYTE_0
	global_load_dwordx4 v[39:42], v9, s[12:13] offset:176
	global_load_dwordx4 v[43:46], v13, s[12:13] offset:160
	;; [unrolled: 1-line block ×4, first 2 shown]
	ds_read_b32 v13, v0 offset:12600
	ds_read2_b32 v[35:36], v36 offset0:10 offset1:235
	v_mul_u32_u24_e32 v22, 0x1f4, v22
	s_movk_i32 s4, 0x7d
	v_cmp_gt_u32_e32 vcc, s4, v38
	s_movk_i32 s4, 0x625
	s_waitcnt vmcnt(5) lgkmcnt(1)
	v_mul_f32_e32 v9, v13, v19
	v_fma_f32 v14, v66, v18, -v9
	v_mul_f32_e32 v9, v66, v19
	v_fmac_f32_e32 v9, v13, v18
	s_waitcnt lgkmcnt(0)
	v_mul_f32_e32 v13, v36, v17
	v_fma_f32 v15, v62, v16, -v13
	v_mul_f32_e32 v13, v62, v17
	v_fmac_f32_e32 v13, v36, v16
	ds_read2_b32 v[16:17], v34 offset0:12 offset1:237
	s_waitcnt vmcnt(4)
	v_mul_f32_e32 v18, v35, v26
	v_fma_f32 v62, v61, v25, -v18
	v_mul_f32_e32 v61, v61, v26
	v_fmac_f32_e32 v61, v35, v25
	s_waitcnt lgkmcnt(0)
	v_mul_f32_e32 v18, v17, v28
	v_fma_f32 v64, v58, v27, -v18
	v_mul_f32_e32 v58, v58, v28
	v_fmac_f32_e32 v58, v17, v27
	ds_read2_b32 v[17:18], v32 offset0:8 offset1:233
	s_waitcnt vmcnt(3)
	v_mul_f32_e32 v32, v57, v42
	v_mul_f32_e32 v19, v16, v42
	v_fmac_f32_e32 v32, v16, v41
	v_fma_f32 v25, v57, v41, -v19
	s_waitcnt lgkmcnt(0)
	v_mul_f32_e32 v16, v18, v40
	v_fma_f32 v26, v56, v39, -v16
	v_mul_f32_e32 v56, v56, v40
	v_fmac_f32_e32 v56, v18, v39
	ds_read2_b32 v[18:19], v12 offset0:4 offset1:229
	s_waitcnt vmcnt(2)
	v_mul_f32_e32 v12, v17, v46
	v_mul_f32_e32 v46, v55, v46
	v_fma_f32 v12, v55, v45, -v12
	v_fmac_f32_e32 v46, v17, v45
	s_waitcnt lgkmcnt(0)
	v_mul_f32_e32 v16, v19, v44
	v_fma_f32 v45, v60, v43, -v16
	ds_read2_b32 v[16:17], v10 offset0:6 offset1:231
	v_mul_f32_e32 v55, v60, v44
	s_waitcnt vmcnt(1)
	v_mul_f32_e32 v10, v18, v48
	v_fmac_f32_e32 v55, v19, v43
	v_fma_f32 v19, v59, v47, -v10
	v_mul_f32_e32 v48, v59, v48
	s_waitcnt lgkmcnt(0)
	v_mul_f32_e32 v10, v17, v50
	v_mul_f32_e32 v50, v21, v50
	v_fmac_f32_e32 v48, v18, v47
	v_fmac_f32_e32 v50, v17, v49
	ds_read2_b32 v[17:18], v30 offset0:2 offset1:227
	v_fma_f32 v47, v21, v49, -v10
	s_waitcnt vmcnt(0)
	v_mul_f32_e32 v10, v16, v54
	v_fma_f32 v21, v20, v53, -v10
	v_mul_f32_e32 v20, v20, v54
	s_waitcnt lgkmcnt(0)
	v_mul_f32_e32 v10, v18, v52
	v_fmac_f32_e32 v20, v16, v53
	v_fma_f32 v16, v6, v51, -v10
	v_mul_f32_e32 v6, v6, v52
	v_fmac_f32_e32 v6, v18, v51
	v_lshlrev_b32_sdwa v10, v11, v63 dst_sel:DWORD dst_unused:UNUSED_PAD src0_sel:DWORD src1_sel:BYTE_0
	v_sub_f32_e32 v11, v16, v21
	v_sub_f32_e32 v18, v25, v26
	v_add_f32_e32 v18, v11, v18
	v_mul_u32_u24_e32 v11, 0x1f4, v37
	v_add3_u32 v49, 0, v11, v10
	v_add_f32_e32 v10, v7, v16
	v_add_f32_e32 v10, v10, v21
	;; [unrolled: 1-line block ×5, first 2 shown]
	v_fma_f32 v28, -0.5, v10, v7
	v_sub_f32_e32 v34, v6, v32
	v_mov_b32_e32 v35, v28
	v_fmac_f32_e32 v35, 0x3f737871, v34
	v_sub_f32_e32 v36, v20, v56
	v_fmac_f32_e32 v35, 0x3f167918, v36
	v_fmac_f32_e32 v35, 0x3e9e377a, v18
	ds_read2_b32 v[10:11], v0 offset1:225
	s_waitcnt lgkmcnt(0)
	s_barrier
	ds_write2_b32 v49, v27, v35 offset1:25
	v_sub_f32_e32 v27, v21, v16
	v_sub_f32_e32 v35, v26, v25
	v_add_f32_e32 v27, v27, v35
	v_add_f32_e32 v35, v16, v25
	v_fma_f32 v7, -0.5, v35, v7
	v_mov_b32_e32 v35, v7
	v_fmac_f32_e32 v35, 0xbf737871, v36
	v_fmac_f32_e32 v7, 0x3f737871, v36
	;; [unrolled: 1-line block ×7, first 2 shown]
	ds_write2_b32 v49, v35, v7 offset0:50 offset1:75
	v_fmac_f32_e32 v28, 0xbf167918, v36
	v_add_f32_e32 v7, v47, v62
	v_add_f32_e32 v27, v19, v64
	v_fmac_f32_e32 v28, 0x3e9e377a, v18
	v_fma_f32 v7, -0.5, v7, v8
	v_add_f32_e32 v18, v8, v19
	v_fmac_f32_e32 v8, -0.5, v27
	v_sub_f32_e32 v27, v47, v19
	v_sub_f32_e32 v34, v62, v64
	v_add_f32_e32 v27, v27, v34
	v_sub_f32_e32 v34, v50, v61
	v_mov_b32_e32 v35, v8
	v_fmac_f32_e32 v35, 0xbf737871, v34
	v_sub_f32_e32 v36, v48, v58
	v_fmac_f32_e32 v8, 0x3f737871, v34
	v_fmac_f32_e32 v35, 0x3f167918, v36
	;; [unrolled: 1-line block ×5, first 2 shown]
	ds_write_b32 v49, v28 offset:400
	v_lshlrev_b32_e32 v27, 2, v33
	v_mul_u32_u24_e32 v28, 0x1f4, v31
	v_add3_u32 v33, 0, v28, v27
	ds_write2_b32 v33, v35, v8 offset0:50 offset1:75
	v_sub_f32_e32 v8, v19, v47
	v_sub_f32_e32 v27, v64, v62
	v_add_f32_e32 v8, v8, v27
	v_mov_b32_e32 v27, v7
	v_add_f32_e32 v18, v18, v47
	v_fmac_f32_e32 v27, 0x3f737871, v36
	v_add_f32_e32 v18, v18, v62
	v_fmac_f32_e32 v27, 0x3f167918, v34
	v_fmac_f32_e32 v7, 0xbf737871, v36
	v_add_f32_e32 v18, v18, v64
	v_fmac_f32_e32 v27, 0x3e9e377a, v8
	v_fmac_f32_e32 v7, 0xbf167918, v34
	ds_write2_b32 v33, v18, v27 offset1:25
	v_fmac_f32_e32 v7, 0x3e9e377a, v8
	v_add_f32_e32 v8, v12, v15
	v_add_f32_e32 v27, v45, v14
	v_fma_f32 v8, -0.5, v8, v5
	v_add_f32_e32 v18, v5, v45
	v_fmac_f32_e32 v5, -0.5, v27
	v_sub_f32_e32 v27, v12, v45
	v_sub_f32_e32 v28, v15, v14
	v_add_f32_e32 v27, v27, v28
	v_sub_f32_e32 v28, v46, v13
	v_mov_b32_e32 v31, v5
	v_fmac_f32_e32 v31, 0xbf737871, v28
	v_sub_f32_e32 v34, v55, v9
	v_fmac_f32_e32 v5, 0x3f737871, v28
	v_fmac_f32_e32 v31, 0x3f167918, v34
	;; [unrolled: 1-line block ×3, first 2 shown]
	ds_write_b32 v33, v7 offset:400
	v_lshlrev_b32_e32 v7, 2, v29
	v_fmac_f32_e32 v31, 0x3e9e377a, v27
	v_fmac_f32_e32 v5, 0x3e9e377a, v27
	v_add3_u32 v51, 0, v22, v7
	ds_write2_b32 v51, v31, v5 offset0:50 offset1:75
	v_sub_f32_e32 v5, v45, v12
	v_sub_f32_e32 v7, v14, v15
	v_add_f32_e32 v5, v5, v7
	v_add_f32_e32 v7, v18, v12
	v_mov_b32_e32 v18, v8
	v_fmac_f32_e32 v18, 0x3f737871, v34
	v_add_f32_e32 v7, v7, v15
	v_fmac_f32_e32 v18, 0x3f167918, v28
	v_add_f32_e32 v7, v7, v14
	v_fmac_f32_e32 v18, 0x3e9e377a, v5
	ds_write2_b32 v51, v7, v18 offset1:25
	v_sub_f32_e32 v18, v21, v26
	v_sub_f32_e32 v7, v6, v20
	;; [unrolled: 1-line block ×3, first 2 shown]
	v_add_f32_e32 v52, v7, v21
	v_fmac_f32_e32 v8, 0xbf737871, v34
	v_add_f32_e32 v7, v20, v56
	v_fmac_f32_e32 v8, 0xbf167918, v28
	v_fma_f32 v53, -0.5, v7, v10
	v_sub_f32_e32 v16, v16, v25
	v_fmac_f32_e32 v8, 0x3e9e377a, v5
	v_add_f32_e32 v5, v10, v6
	v_mov_b32_e32 v54, v53
	v_add_f32_e32 v5, v5, v20
	v_fmac_f32_e32 v54, 0xbf737871, v16
	v_add_f32_e32 v5, v5, v56
	v_fmac_f32_e32 v54, 0xbf167918, v18
	;; [unrolled: 2-line block ×3, first 2 shown]
	v_lshl_add_u32 v31, v38, 2, 0
	ds_write_b32 v51, v8 offset:400
	s_waitcnt lgkmcnt(0)
	s_barrier
	v_add_u32_e32 v25, 0x1180, v0
	v_add_u32_e32 v27, 0x1f80, v0
	;; [unrolled: 1-line block ×5, first 2 shown]
	ds_read_b32 v57, v31 offset:3600
	ds_read2_b32 v[7:8], v0 offset1:225
	ds_read2_b32 v[21:22], v25 offset0:5 offset1:230
	ds_read2_b32 v[34:35], v27 offset0:9 offset1:234
	;; [unrolled: 1-line block ×6, first 2 shown]
	s_waitcnt lgkmcnt(0)
	s_barrier
	ds_write2_b32 v49, v5, v54 offset1:25
	v_sub_f32_e32 v5, v20, v6
	v_add_f32_e32 v6, v6, v32
	v_fma_f32 v6, -0.5, v6, v10
	v_mov_b32_e32 v10, v6
	v_sub_f32_e32 v20, v56, v32
	v_fmac_f32_e32 v10, 0x3f737871, v18
	v_fmac_f32_e32 v6, 0xbf737871, v18
	v_add_f32_e32 v5, v5, v20
	v_fmac_f32_e32 v10, 0xbf167918, v16
	v_fmac_f32_e32 v6, 0x3f167918, v16
	;; [unrolled: 1-line block ×5, first 2 shown]
	ds_write2_b32 v49, v10, v6 offset0:50 offset1:75
	v_fmac_f32_e32 v53, 0x3f167918, v18
	v_add_f32_e32 v10, v50, v61
	v_add_f32_e32 v18, v48, v58
	v_sub_f32_e32 v5, v19, v64
	v_fma_f32 v10, -0.5, v10, v11
	v_add_f32_e32 v16, v11, v48
	v_fmac_f32_e32 v11, -0.5, v18
	v_sub_f32_e32 v18, v50, v48
	v_sub_f32_e32 v19, v61, v58
	;; [unrolled: 1-line block ×3, first 2 shown]
	v_add_f32_e32 v18, v18, v19
	v_mov_b32_e32 v19, v11
	v_fmac_f32_e32 v19, 0x3f737871, v6
	v_fmac_f32_e32 v11, 0xbf737871, v6
	v_fmac_f32_e32 v19, 0xbf167918, v5
	v_fmac_f32_e32 v11, 0x3f167918, v5
	v_fmac_f32_e32 v53, 0x3e9e377a, v52
	v_fmac_f32_e32 v19, 0x3e9e377a, v18
	v_fmac_f32_e32 v11, 0x3e9e377a, v18
	ds_write_b32 v49, v53 offset:400
	ds_write2_b32 v33, v19, v11 offset0:50 offset1:75
	v_add_f32_e32 v11, v16, v50
	v_sub_f32_e32 v16, v48, v50
	v_sub_f32_e32 v18, v58, v61
	v_add_f32_e32 v16, v16, v18
	v_mov_b32_e32 v18, v10
	v_fmac_f32_e32 v18, 0xbf737871, v5
	v_add_f32_e32 v11, v11, v61
	v_fmac_f32_e32 v18, 0xbf167918, v6
	v_add_f32_e32 v11, v11, v58
	v_fmac_f32_e32 v18, 0x3e9e377a, v16
	v_fmac_f32_e32 v10, 0x3f737871, v5
	ds_write2_b32 v33, v11, v18 offset1:25
	v_fmac_f32_e32 v10, 0x3f167918, v6
	v_sub_f32_e32 v6, v12, v15
	v_sub_f32_e32 v11, v55, v46
	;; [unrolled: 1-line block ×3, first 2 shown]
	v_add_f32_e32 v11, v11, v12
	v_add_f32_e32 v12, v46, v13
	v_fma_f32 v12, -0.5, v12, v17
	v_sub_f32_e32 v5, v45, v14
	v_mov_b32_e32 v14, v12
	v_fmac_f32_e32 v14, 0xbf737871, v5
	v_fmac_f32_e32 v12, 0x3f737871, v5
	;; [unrolled: 1-line block ×6, first 2 shown]
	v_add_f32_e32 v11, v17, v55
	v_add_f32_e32 v15, v55, v9
	v_add_f32_e32 v11, v11, v46
	v_fmac_f32_e32 v17, -0.5, v15
	v_add_f32_e32 v11, v11, v13
	v_add_f32_e32 v11, v11, v9
	v_sub_f32_e32 v9, v13, v9
	v_mov_b32_e32 v13, v17
	v_fmac_f32_e32 v13, 0x3f737871, v6
	v_fmac_f32_e32 v17, 0xbf737871, v6
	;; [unrolled: 1-line block ×4, first 2 shown]
	v_add_u32_e32 v5, 0xffffff83, v38
	v_sub_f32_e32 v15, v46, v55
	v_cndmask_b32_e32 v48, v5, v38, vcc
	v_fmac_f32_e32 v10, 0x3e9e377a, v16
	v_add_f32_e32 v9, v15, v9
	v_lshlrev_b32_e32 v5, 1, v48
	v_mov_b32_e32 v6, 0
	v_fmac_f32_e32 v13, 0x3e9e377a, v9
	v_fmac_f32_e32 v17, 0x3e9e377a, v9
	ds_write_b32 v33, v10 offset:400
	ds_write2_b32 v51, v11, v14 offset1:25
	ds_write2_b32 v51, v13, v17 offset0:50 offset1:75
	ds_write_b32 v51, v12 offset:400
	v_lshlrev_b64 v[10:11], 3, v[5:6]
	v_mov_b32_e32 v9, s13
	v_add_co_u32_e32 v10, vcc, s12, v10
	v_addc_co_u32_e32 v11, vcc, v9, v11, vcc
	s_waitcnt lgkmcnt(0)
	s_barrier
	global_load_dwordx4 v[10:13], v[10:11], off offset:960
	ds_read2_b32 v[32:33], v25 offset0:5 offset1:230
	v_mul_u32_u24_sdwa v5, v24, s4 dst_sel:DWORD dst_unused:UNUSED_PAD src0_sel:WORD_0 src1_sel:DWORD
	ds_read2_b32 v[45:46], v27 offset0:9 offset1:234
	v_sub_u16_sdwa v14, v24, v5 dst_sel:DWORD dst_unused:UNUSED_PAD src0_sel:DWORD src1_sel:WORD_1
	v_lshrrev_b16_e32 v14, 1, v14
	v_add_u16_sdwa v5, v14, v5 dst_sel:DWORD dst_unused:UNUSED_PAD src0_sel:DWORD src1_sel:WORD_1
	v_lshrrev_b16_e32 v5, 6, v5
	v_mul_lo_u16_e32 v14, 0x7d, v5
	v_sub_u16_e32 v49, v24, v14
	v_lshlrev_b32_e32 v14, 4, v49
	global_load_dwordx4 v[14:17], v14, s[12:13] offset:960
	v_mul_u32_u24_e32 v5, 0x5dc, v5
	s_waitcnt vmcnt(1) lgkmcnt(1)
	v_mul_f32_e32 v18, v32, v11
	v_mul_f32_e32 v51, v21, v11
	v_fma_f32 v50, v21, v10, -v18
	v_fmac_f32_e32 v51, v32, v10
	s_waitcnt lgkmcnt(0)
	v_mul_f32_e32 v10, v46, v13
	v_fma_f32 v52, v35, v12, -v10
	v_mul_u32_u24_sdwa v10, v23, s4 dst_sel:DWORD dst_unused:UNUSED_PAD src0_sel:WORD_0 src1_sel:DWORD
	v_sub_u16_sdwa v11, v23, v10 dst_sel:DWORD dst_unused:UNUSED_PAD src0_sel:DWORD src1_sel:WORD_1
	v_lshrrev_b16_e32 v11, 1, v11
	v_add_u16_sdwa v10, v11, v10 dst_sel:DWORD dst_unused:UNUSED_PAD src0_sel:DWORD src1_sel:WORD_1
	v_add_u32_e32 v32, 0x2a3, v38
	v_lshrrev_b16_e32 v53, 6, v10
	v_mul_lo_u16_e32 v10, 0x7d, v53
	v_mul_u32_u24_sdwa v18, v32, s4 dst_sel:DWORD dst_unused:UNUSED_PAD src0_sel:WORD_0 src1_sel:DWORD
	v_sub_u16_e32 v54, v23, v10
	v_sub_u16_sdwa v19, v32, v18 dst_sel:DWORD dst_unused:UNUSED_PAD src0_sel:DWORD src1_sel:WORD_1
	v_mul_f32_e32 v35, v35, v13
	v_lshlrev_b32_e32 v10, 4, v54
	v_lshrrev_b16_e32 v19, 1, v19
	v_fmac_f32_e32 v35, v46, v12
	global_load_dwordx4 v[10:13], v10, s[12:13] offset:960
	v_add_u16_sdwa v18, v19, v18 dst_sel:DWORD dst_unused:UNUSED_PAD src0_sel:DWORD src1_sel:WORD_1
	v_lshrrev_b16_e32 v55, 6, v18
	v_mul_lo_u16_e32 v18, 0x7d, v55
	v_sub_u16_e32 v56, v32, v18
	v_lshlrev_b32_e32 v18, 4, v56
	global_load_dwordx4 v[18:21], v18, s[12:13] offset:960
	ds_read2_b32 v[46:47], v26 offset0:11 offset1:236
	s_waitcnt vmcnt(2)
	v_mul_f32_e32 v58, v33, v15
	v_mul_f32_e32 v59, v22, v15
	v_fma_f32 v58, v22, v14, -v58
	v_fmac_f32_e32 v59, v33, v14
	s_waitcnt lgkmcnt(0)
	v_mul_f32_e32 v14, v46, v17
	v_fma_f32 v60, v36, v16, -v14
	ds_read2_b32 v[14:15], v28 offset0:7 offset1:232
	v_mul_f32_e32 v17, v36, v17
	v_fmac_f32_e32 v17, v46, v16
	v_add_u32_e32 v33, 0x384, v38
	v_sub_f32_e32 v22, v51, v35
	s_waitcnt vmcnt(1)
	v_mul_f32_e32 v16, v47, v13
	v_mul_f32_e32 v46, v37, v13
	;; [unrolled: 1-line block ×3, first 2 shown]
	v_fma_f32 v16, v37, v12, -v16
	v_fmac_f32_e32 v46, v47, v12
	s_waitcnt lgkmcnt(0)
	v_mul_f32_e32 v12, v14, v11
	v_fmac_f32_e32 v61, v14, v10
	ds_read2_b32 v[13:14], v29 offset0:13 offset1:238
	v_fma_f32 v47, v41, v10, -v12
	s_waitcnt vmcnt(0)
	v_mul_f32_e32 v10, v15, v19
	v_fma_f32 v62, v42, v18, -v10
	v_mul_f32_e32 v63, v42, v19
	s_waitcnt lgkmcnt(0)
	v_mul_f32_e32 v10, v13, v21
	v_fmac_f32_e32 v63, v15, v18
	v_fma_f32 v15, v43, v20, -v10
	v_mul_u32_u24_sdwa v10, v33, s4 dst_sel:DWORD dst_unused:UNUSED_PAD src0_sel:WORD_0 src1_sel:DWORD
	v_sub_u16_sdwa v11, v33, v10 dst_sel:DWORD dst_unused:UNUSED_PAD src0_sel:DWORD src1_sel:WORD_1
	v_lshrrev_b16_e32 v11, 1, v11
	v_add_u16_sdwa v10, v11, v10 dst_sel:DWORD dst_unused:UNUSED_PAD src0_sel:DWORD src1_sel:WORD_1
	v_lshrrev_b16_e32 v18, 6, v10
	v_mul_lo_u16_e32 v10, 0x7d, v18
	v_sub_u16_e32 v19, v33, v10
	v_mul_f32_e32 v64, v43, v21
	v_lshlrev_b32_e32 v10, 4, v19
	v_fmac_f32_e32 v64, v13, v20
	global_load_dwordx4 v[10:13], v10, s[12:13] offset:960
	s_movk_i32 s4, 0x7c
	v_cmp_lt_u32_e32 vcc, s4, v38
	v_mul_u32_u24_e32 v18, 0x5dc, v18
	v_lshlrev_b32_e32 v19, 2, v19
	s_movk_i32 s4, 0x96
	s_waitcnt vmcnt(0)
	v_mul_f32_e32 v20, v45, v11
	v_mul_f32_e32 v65, v34, v11
	v_fma_f32 v20, v34, v10, -v20
	v_fmac_f32_e32 v65, v45, v10
	v_mul_f32_e32 v10, v14, v13
	v_fma_f32 v45, v44, v12, -v10
	v_mov_b32_e32 v10, 0x5dc
	v_mul_f32_e32 v66, v44, v13
	v_cndmask_b32_e32 v10, 0, v10, vcc
	v_lshlrev_b32_e32 v11, 2, v48
	v_fmac_f32_e32 v66, v14, v12
	v_add3_u32 v14, 0, v10, v11
	v_add_f32_e32 v10, v7, v50
	v_add_f32_e32 v21, v10, v52
	;; [unrolled: 1-line block ×3, first 2 shown]
	v_fma_f32 v7, -0.5, v10, v7
	v_mov_b32_e32 v34, v7
	v_fmac_f32_e32 v34, 0x3f5db3d7, v22
	v_fmac_f32_e32 v7, 0xbf5db3d7, v22
	v_add_f32_e32 v22, v58, v60
	ds_read_b32 v48, v31 offset:3600
	ds_read2_b32 v[10:11], v0 offset1:225
	ds_read2_b32 v[12:13], v30 offset0:2 offset1:227
	s_waitcnt lgkmcnt(0)
	s_barrier
	ds_write2_b32 v14, v21, v34 offset1:125
	v_add_f32_e32 v21, v8, v58
	v_fmac_f32_e32 v8, -0.5, v22
	ds_write_b32 v14, v7 offset:1000
	v_lshlrev_b32_e32 v7, 2, v49
	v_add3_u32 v5, 0, v5, v7
	v_add_f32_e32 v7, v21, v60
	v_sub_f32_e32 v21, v59, v17
	v_mov_b32_e32 v22, v8
	v_fmac_f32_e32 v22, 0x3f5db3d7, v21
	v_fmac_f32_e32 v8, 0xbf5db3d7, v21
	v_add_f32_e32 v21, v47, v16
	ds_write2_b32 v5, v7, v22 offset1:125
	ds_write_b32 v5, v8 offset:1000
	v_mul_u32_u24_e32 v7, 0x5dc, v53
	v_lshlrev_b32_e32 v8, 2, v54
	v_fma_f32 v21, -0.5, v21, v39
	v_add3_u32 v7, 0, v7, v8
	v_add_f32_e32 v8, v39, v47
	v_sub_f32_e32 v22, v61, v46
	v_mov_b32_e32 v34, v21
	v_add_f32_e32 v8, v8, v16
	v_fmac_f32_e32 v34, 0x3f5db3d7, v22
	v_fmac_f32_e32 v21, 0xbf5db3d7, v22
	v_add_f32_e32 v22, v62, v15
	ds_write2_b32 v7, v8, v34 offset1:125
	v_add_f32_e32 v8, v40, v62
	v_fmac_f32_e32 v40, -0.5, v22
	ds_write_b32 v7, v21 offset:1000
	v_mul_u32_u24_e32 v21, 0x5dc, v55
	v_lshlrev_b32_e32 v22, 2, v56
	v_add3_u32 v49, 0, v21, v22
	v_sub_f32_e32 v21, v63, v64
	v_mov_b32_e32 v22, v40
	v_add_f32_e32 v8, v8, v15
	v_fmac_f32_e32 v22, 0x3f5db3d7, v21
	v_fmac_f32_e32 v40, 0xbf5db3d7, v21
	v_add_f32_e32 v21, v20, v45
	ds_write2_b32 v49, v8, v22 offset1:125
	v_add_f32_e32 v8, v57, v20
	v_fmac_f32_e32 v57, -0.5, v21
	v_add3_u32 v53, 0, v18, v19
	v_sub_f32_e32 v18, v65, v66
	v_mov_b32_e32 v19, v57
	v_add_f32_e32 v8, v8, v45
	v_fmac_f32_e32 v19, 0x3f5db3d7, v18
	ds_write_b32 v49, v40 offset:1000
	ds_write2_b32 v53, v8, v19 offset1:125
	v_add_f32_e32 v19, v51, v35
	v_add_f32_e32 v8, v10, v51
	v_sub_f32_e32 v50, v50, v52
	v_fma_f32 v10, -0.5, v19, v10
	v_fmac_f32_e32 v57, 0xbf5db3d7, v18
	v_mov_b32_e32 v51, v10
	v_fmac_f32_e32 v10, 0x3f5db3d7, v50
	v_add_f32_e32 v8, v8, v35
	ds_write_b32 v53, v57 offset:1000
	v_fmac_f32_e32 v51, 0xbf5db3d7, v50
	s_waitcnt lgkmcnt(0)
	s_barrier
	ds_read_b32 v52, v31 offset:3600
	ds_read2_b32 v[21:22], v0 offset1:225
	ds_read2_b32 v[18:19], v25 offset0:5 offset1:230
	ds_read2_b32 v[34:35], v27 offset0:9 offset1:234
	;; [unrolled: 1-line block ×6, first 2 shown]
	s_waitcnt lgkmcnt(0)
	s_barrier
	ds_write_b32 v14, v10 offset:1000
	v_add_f32_e32 v10, v59, v17
	ds_write2_b32 v14, v8, v51 offset1:125
	v_add_f32_e32 v8, v11, v59
	v_fmac_f32_e32 v11, -0.5, v10
	v_sub_f32_e32 v10, v58, v60
	v_mov_b32_e32 v14, v11
	v_add_f32_e32 v8, v8, v17
	v_fmac_f32_e32 v14, 0xbf5db3d7, v10
	ds_write2_b32 v5, v8, v14 offset1:125
	v_add_f32_e32 v8, v61, v46
	v_fmac_f32_e32 v11, 0x3f5db3d7, v10
	v_fma_f32 v8, -0.5, v8, v12
	ds_write_b32 v5, v11 offset:1000
	v_add_f32_e32 v5, v12, v61
	v_sub_f32_e32 v10, v47, v16
	v_mov_b32_e32 v11, v8
	v_add_f32_e32 v5, v5, v46
	v_fmac_f32_e32 v11, 0xbf5db3d7, v10
	v_fmac_f32_e32 v8, 0x3f5db3d7, v10
	ds_write2_b32 v7, v5, v11 offset1:125
	ds_write_b32 v7, v8 offset:1000
	v_add_f32_e32 v7, v63, v64
	v_add_f32_e32 v5, v13, v63
	v_fmac_f32_e32 v13, -0.5, v7
	v_sub_f32_e32 v7, v62, v15
	v_mov_b32_e32 v8, v13
	v_add_f32_e32 v5, v5, v64
	v_fmac_f32_e32 v8, 0xbf5db3d7, v7
	v_fmac_f32_e32 v13, 0x3f5db3d7, v7
	v_add_f32_e32 v7, v65, v66
	ds_write2_b32 v49, v5, v8 offset1:125
	v_add_f32_e32 v5, v48, v65
	v_fmac_f32_e32 v48, -0.5, v7
	v_sub_f32_e32 v7, v20, v45
	v_mov_b32_e32 v8, v48
	v_add_f32_e32 v5, v5, v66
	v_fmac_f32_e32 v8, 0xbf5db3d7, v7
	ds_write_b32 v49, v13 offset:1000
	v_fmac_f32_e32 v48, 0x3f5db3d7, v7
	ds_write2_b32 v53, v5, v8 offset1:125
	ds_write_b32 v53, v48 offset:1000
	v_lshlrev_b32_e32 v5, 1, v38
	v_lshlrev_b64 v[7:8], 3, v[5:6]
	v_add_u32_e32 v14, 0xffffff6a, v38
	v_add_co_u32_e32 v7, vcc, s12, v7
	v_addc_co_u32_e32 v8, vcc, v9, v8, vcc
	v_cmp_gt_u32_e32 vcc, s4, v38
	v_cndmask_b32_e32 v50, v14, v24, vcc
	v_lshlrev_b32_e32 v14, 1, v50
	v_mov_b32_e32 v15, v6
	v_lshlrev_b64 v[14:15], 3, v[14:15]
	s_waitcnt lgkmcnt(0)
	s_barrier
	global_load_dwordx4 v[10:13], v[7:8], off offset:2960
	v_add_co_u32_e32 v14, vcc, s12, v14
	v_addc_co_u32_e32 v15, vcc, v9, v15, vcc
	global_load_dwordx4 v[14:17], v[14:15], off offset:2960
	ds_read2_b32 v[45:46], v25 offset0:5 offset1:230
	ds_read2_b32 v[47:48], v27 offset0:9 offset1:234
	v_add_u32_e32 v5, 0x96, v5
	s_movk_i32 s4, 0x5d87
	s_waitcnt vmcnt(1) lgkmcnt(1)
	v_mul_f32_e32 v20, v45, v11
	v_mul_f32_e32 v53, v18, v11
	v_fma_f32 v51, v18, v10, -v20
	v_fmac_f32_e32 v53, v45, v10
	s_waitcnt lgkmcnt(0)
	v_mul_f32_e32 v10, v48, v13
	v_fma_f32 v45, v35, v12, -v10
	s_waitcnt vmcnt(0)
	v_mul_f32_e32 v10, v46, v15
	v_fma_f32 v55, v19, v14, -v10
	v_lshlrev_b64 v[10:11], 3, v[5:6]
	v_mul_f32_e32 v54, v35, v13
	v_add_co_u32_e32 v10, vcc, s12, v10
	v_fmac_f32_e32 v54, v48, v12
	ds_read2_b32 v[48:49], v26 offset0:11 offset1:236
	v_addc_co_u32_e32 v11, vcc, v9, v11, vcc
	global_load_dwordx4 v[9:12], v[10:11], off offset:2960
	v_mul_f32_e32 v56, v19, v15
	s_waitcnt lgkmcnt(0)
	v_mul_f32_e32 v13, v48, v17
	v_fma_f32 v5, v36, v16, -v13
	v_mul_u32_u24_sdwa v13, v32, s4 dst_sel:DWORD dst_unused:UNUSED_PAD src0_sel:WORD_0 src1_sel:DWORD
	v_fmac_f32_e32 v56, v46, v14
	v_sub_u16_sdwa v14, v32, v13 dst_sel:DWORD dst_unused:UNUSED_PAD src0_sel:DWORD src1_sel:WORD_1
	v_mul_f32_e32 v46, v36, v17
	v_lshrrev_b16_e32 v14, 1, v14
	v_fmac_f32_e32 v46, v48, v16
	v_add_u16_sdwa v48, v14, v13 dst_sel:DWORD dst_unused:UNUSED_PAD src0_sel:DWORD src1_sel:WORD_1
	v_mul_u32_u24_sdwa v17, v33, s4 dst_sel:DWORD dst_unused:UNUSED_PAD src0_sel:WORD_0 src1_sel:DWORD
	v_mul_lo_u16_sdwa v13, v48, s5 dst_sel:DWORD dst_unused:UNUSED_PAD src0_sel:BYTE_1 src1_sel:DWORD
	v_sub_u16_sdwa v18, v33, v17 dst_sel:DWORD dst_unused:UNUSED_PAD src0_sel:DWORD src1_sel:WORD_1
	v_sub_u16_e32 v57, v32, v13
	v_lshrrev_b16_e32 v18, 1, v18
	v_lshlrev_b32_e32 v13, 4, v57
	v_add_u16_sdwa v17, v18, v17 dst_sel:DWORD dst_unused:UNUSED_PAD src0_sel:DWORD src1_sel:WORD_1
	global_load_dwordx4 v[13:16], v13, s[12:13] offset:2960
	v_mul_lo_u16_sdwa v17, v17, s5 dst_sel:DWORD dst_unused:UNUSED_PAD src0_sel:BYTE_1 src1_sel:DWORD
	v_sub_u16_e32 v58, v33, v17
	v_lshlrev_b32_e32 v17, 4, v58
	global_load_dwordx4 v[17:20], v17, s[12:13] offset:2960
	s_movk_i32 s4, 0x95
	v_cmp_lt_u32_e32 vcc, s4, v38
	s_movk_i32 s4, 0x1194
	s_waitcnt vmcnt(2)
	v_mul_f32_e32 v35, v49, v12
	v_fma_f32 v59, v37, v11, -v35
	ds_read2_b32 v[35:36], v28 offset0:7 offset1:232
	v_mul_f32_e32 v60, v37, v12
	v_fmac_f32_e32 v60, v49, v11
	v_add_f32_e32 v12, v55, v5
	s_waitcnt lgkmcnt(0)
	v_mul_f32_e32 v11, v35, v10
	v_fma_f32 v49, v41, v9, -v11
	v_mul_f32_e32 v41, v41, v10
	v_fmac_f32_e32 v41, v35, v9
	ds_read2_b32 v[9:10], v29 offset0:13 offset1:238
	s_waitcnt vmcnt(1)
	v_mul_f32_e32 v11, v36, v14
	v_fma_f32 v61, v42, v13, -v11
	s_waitcnt lgkmcnt(0)
	v_mul_f32_e32 v11, v9, v16
	v_fma_f32 v62, v43, v15, -v11
	v_mul_f32_e32 v43, v43, v16
	v_fmac_f32_e32 v43, v9, v15
	s_waitcnt vmcnt(0)
	v_mul_f32_e32 v9, v47, v18
	v_fma_f32 v63, v34, v17, -v9
	v_mul_f32_e32 v64, v34, v18
	v_mul_f32_e32 v9, v10, v20
	v_fmac_f32_e32 v64, v47, v17
	v_fma_f32 v47, v44, v19, -v9
	v_add_f32_e32 v9, v51, v45
	v_mul_f32_e32 v44, v44, v20
	v_fma_f32 v9, -0.5, v9, v21
	v_fmac_f32_e32 v44, v10, v19
	v_sub_f32_e32 v10, v53, v54
	v_mov_b32_e32 v11, v9
	v_fmac_f32_e32 v11, 0x3f5db3d7, v10
	v_fmac_f32_e32 v9, 0xbf5db3d7, v10
	v_add_f32_e32 v10, v22, v55
	v_fmac_f32_e32 v22, -0.5, v12
	v_add_f32_e32 v12, v21, v51
	v_mul_f32_e32 v42, v42, v14
	v_add_f32_e32 v12, v12, v45
	v_fmac_f32_e32 v42, v36, v13
	ds_read_b32 v65, v31 offset:3600
	ds_read2_b32 v[34:35], v0 offset1:225
	ds_read2_b32 v[36:37], v30 offset0:2 offset1:227
	s_waitcnt lgkmcnt(0)
	s_barrier
	ds_write_b32 v0, v12
	ds_write_b32 v0, v11 offset:1500
	ds_write_b32 v0, v9 offset:3000
	v_mov_b32_e32 v9, 0x1194
	v_cndmask_b32_e32 v9, 0, v9, vcc
	v_lshlrev_b32_e32 v11, 2, v50
	v_add3_u32 v50, 0, v9, v11
	v_sub_f32_e32 v9, v56, v46
	v_mov_b32_e32 v11, v22
	v_fmac_f32_e32 v22, 0xbf5db3d7, v9
	v_fmac_f32_e32 v11, 0x3f5db3d7, v9
	v_add_f32_e32 v9, v49, v59
	v_add_f32_e32 v10, v10, v5
	ds_write_b32 v50, v22 offset:3000
	v_fma_f32 v9, -0.5, v9, v39
	v_sub_f32_e32 v12, v41, v60
	ds_write_b32 v50, v10
	ds_write_b32 v50, v11 offset:1500
	v_add_f32_e32 v10, v39, v49
	v_mov_b32_e32 v13, v9
	v_fmac_f32_e32 v9, 0xbf5db3d7, v12
	v_add_f32_e32 v10, v10, v59
	v_fmac_f32_e32 v13, 0x3f5db3d7, v12
	v_add_f32_e32 v14, v61, v62
	ds_write_b32 v31, v10 offset:4800
	ds_write_b32 v31, v13 offset:6300
	;; [unrolled: 1-line block ×3, first 2 shown]
	v_mul_u32_u24_sdwa v9, v48, s4 dst_sel:DWORD dst_unused:UNUSED_PAD src0_sel:BYTE_1 src1_sel:DWORD
	v_lshlrev_b32_e32 v10, 2, v57
	v_add_f32_e32 v12, v40, v61
	v_fmac_f32_e32 v40, -0.5, v14
	v_add3_u32 v39, 0, v9, v10
	v_sub_f32_e32 v9, v42, v43
	v_mov_b32_e32 v10, v40
	v_fmac_f32_e32 v40, 0xbf5db3d7, v9
	v_add_f32_e32 v11, v34, v53
	ds_write_b32 v39, v40 offset:3000
	v_add_f32_e32 v40, v11, v54
	v_add_f32_e32 v11, v53, v54
	v_sub_f32_e32 v13, v51, v45
	v_fma_f32 v45, -0.5, v11, v34
	v_add_f32_e32 v11, v56, v46
	v_add_f32_e32 v51, v35, v56
	v_fmac_f32_e32 v35, -0.5, v11
	v_add_f32_e32 v11, v63, v47
	v_mov_b32_e32 v48, v45
	v_fmac_f32_e32 v10, 0x3f5db3d7, v9
	v_add_f32_e32 v9, v52, v63
	v_fmac_f32_e32 v52, -0.5, v11
	v_fmac_f32_e32 v48, 0xbf5db3d7, v13
	v_fmac_f32_e32 v45, 0x3f5db3d7, v13
	v_sub_f32_e32 v11, v64, v44
	v_mov_b32_e32 v13, v52
	v_fmac_f32_e32 v13, 0x3f5db3d7, v11
	v_fmac_f32_e32 v52, 0xbf5db3d7, v11
	v_add_f32_e32 v11, v12, v62
	v_add_f32_e32 v9, v9, v47
	v_lshl_add_u32 v53, v58, 2, 0
	v_sub_f32_e32 v5, v55, v5
	ds_write_b32 v39, v11
	ds_write_b32 v39, v10 offset:1500
	ds_write_b32 v53, v9 offset:9000
	;; [unrolled: 1-line block ×4, first 2 shown]
	s_waitcnt lgkmcnt(0)
	s_barrier
	ds_read_b32 v34, v31 offset:3600
	ds_read2_b32 v[9:10], v0 offset1:225
	ds_read2_b32 v[13:14], v25 offset0:5 offset1:230
	ds_read2_b32 v[11:12], v27 offset0:9 offset1:234
	;; [unrolled: 1-line block ×6, first 2 shown]
	s_waitcnt lgkmcnt(0)
	s_barrier
	ds_write_b32 v0, v40
	ds_write_b32 v0, v48 offset:1500
	ds_write_b32 v0, v45 offset:3000
	v_mov_b32_e32 v40, v35
	v_fmac_f32_e32 v35, 0x3f5db3d7, v5
	ds_write_b32 v50, v35 offset:3000
	v_add_f32_e32 v35, v51, v46
	v_fmac_f32_e32 v40, 0xbf5db3d7, v5
	ds_write_b32 v50, v35
	ds_write_b32 v50, v40 offset:1500
	v_add_f32_e32 v35, v41, v60
	v_fma_f32 v35, -0.5, v35, v36
	v_add_f32_e32 v5, v36, v41
	v_sub_f32_e32 v40, v49, v59
	v_mov_b32_e32 v36, v35
	v_add_f32_e32 v41, v42, v43
	v_add_f32_e32 v5, v5, v60
	v_fmac_f32_e32 v36, 0xbf5db3d7, v40
	v_fmac_f32_e32 v35, 0x3f5db3d7, v40
	v_add_f32_e32 v40, v37, v42
	v_fmac_f32_e32 v37, -0.5, v41
	v_sub_f32_e32 v41, v61, v62
	ds_write_b32 v31, v5 offset:4800
	ds_write_b32 v31, v36 offset:6300
	;; [unrolled: 1-line block ×3, first 2 shown]
	v_mov_b32_e32 v5, v37
	v_fmac_f32_e32 v37, 0x3f5db3d7, v41
	v_add_f32_e32 v35, v40, v43
	ds_write_b32 v39, v37 offset:3000
	v_fmac_f32_e32 v5, 0xbf5db3d7, v41
	ds_write_b32 v39, v35
	ds_write_b32 v39, v5 offset:1500
	v_add_f32_e32 v35, v64, v44
	v_add_f32_e32 v5, v65, v64
	v_fmac_f32_e32 v65, -0.5, v35
	v_add_f32_e32 v5, v5, v44
	v_sub_f32_e32 v35, v63, v47
	v_mov_b32_e32 v36, v65
	v_fmac_f32_e32 v36, 0xbf5db3d7, v35
	v_fmac_f32_e32 v65, 0x3f5db3d7, v35
	ds_write_b32 v53, v5 offset:9000
	ds_write_b32 v53, v36 offset:10500
	;; [unrolled: 1-line block ×3, first 2 shown]
	s_waitcnt lgkmcnt(0)
	s_barrier
	s_and_saveexec_b64 s[4:5], s[0:1]
	s_cbranch_execz .LBB0_15
; %bb.14:
	v_lshlrev_b32_e32 v5, 1, v33
	v_lshlrev_b64 v[35:36], 3, v[5:6]
	v_mov_b32_e32 v37, s13
	v_add_co_u32_e32 v5, vcc, s12, v35
	v_addc_co_u32_e32 v33, vcc, v37, v36, vcc
	v_add_co_u32_e32 v35, vcc, 0x2000, v5
	v_lshlrev_b32_e32 v5, 1, v32
	v_addc_co_u32_e32 v36, vcc, 0, v33, vcc
	v_lshlrev_b64 v[32:33], 3, v[5:6]
	s_movk_i32 s0, 0x2000
	v_add_co_u32_e32 v5, vcc, s12, v32
	v_addc_co_u32_e32 v33, vcc, v37, v33, vcc
	v_add_co_u32_e32 v32, vcc, s0, v5
	global_load_dwordx4 v[39:42], v[35:36], off offset:768
	v_addc_co_u32_e32 v33, vcc, 0, v33, vcc
	global_load_dwordx4 v[43:46], v[32:33], off offset:768
	v_lshlrev_b32_e32 v5, 1, v23
	v_lshlrev_b64 v[32:33], 3, v[5:6]
	v_mul_lo_u32 v59, s3, v3
	v_add_co_u32_e32 v5, vcc, s12, v32
	v_addc_co_u32_e32 v23, vcc, v37, v33, vcc
	v_add_co_u32_e32 v32, vcc, s0, v5
	v_addc_co_u32_e32 v33, vcc, 0, v23, vcc
	global_load_dwordx4 v[47:50], v[32:33], off offset:768
	v_lshlrev_b32_e32 v5, 1, v24
	v_lshlrev_b64 v[23:24], 3, v[5:6]
	ds_read2_b32 v[32:33], v27 offset0:9 offset1:234
	ds_read2_b32 v[35:36], v29 offset0:13 offset1:238
	ds_read_b32 v31, v31 offset:3600
	ds_read2_b32 v[55:56], v28 offset0:7 offset1:232
	ds_read2_b32 v[57:58], v30 offset0:2 offset1:227
	v_add_co_u32_e32 v5, vcc, s12, v23
	v_addc_co_u32_e32 v24, vcc, v37, v24, vcc
	v_add_co_u32_e32 v23, vcc, s0, v5
	v_addc_co_u32_e32 v24, vcc, 0, v24, vcc
	global_load_dwordx4 v[27:30], v[23:24], off offset:768
	v_add_co_u32_e32 v7, vcc, s0, v7
	v_addc_co_u32_e32 v8, vcc, 0, v8, vcc
	global_load_dwordx4 v[51:54], v[7:8], off offset:768
	v_mul_lo_u32 v60, s2, v4
	v_mad_u64_u32 v[3:4], s[2:3], s2, v3, 0
	s_mov_b32 s1, 0xe90452d5
	v_add3_u32 v4, v4, v60, v59
	v_lshlrev_b64 v[3:4], 3, v[3:4]
	v_add_co_u32_e32 v3, vcc, s10, v3
	s_waitcnt vmcnt(4) lgkmcnt(4)
	v_mul_f32_e32 v5, v32, v40
	s_waitcnt lgkmcnt(3)
	v_mul_f32_e32 v7, v36, v42
	v_mul_f32_e32 v23, v11, v40
	;; [unrolled: 1-line block ×3, first 2 shown]
	s_waitcnt vmcnt(3) lgkmcnt(1)
	v_mul_f32_e32 v8, v56, v44
	v_fma_f32 v5, v11, v39, -v5
	v_fma_f32 v11, v22, v41, -v7
	v_fmac_f32_e32 v23, v39, v32
	v_fmac_f32_e32 v24, v41, v36
	v_mul_f32_e32 v36, v20, v44
	v_fma_f32 v41, v20, v43, -v8
	v_add_f32_e32 v7, v23, v24
	v_add_f32_e32 v20, v5, v11
	v_mul_f32_e32 v37, v35, v46
	v_fma_f32 v8, -0.5, v7, v31
	v_fma_f32 v7, -0.5, v20, v34
	v_sub_f32_e32 v20, v5, v11
	v_add_f32_e32 v22, v23, v31
	v_add_f32_e32 v5, v34, v5
	v_fma_f32 v42, v21, v45, -v37
	v_sub_f32_e32 v37, v23, v24
	v_add_f32_e32 v23, v24, v22
	v_add_f32_e32 v22, v5, v11
	v_mul_f32_e32 v5, v21, v46
	v_fmac_f32_e32 v36, v43, v56
	v_fmac_f32_e32 v5, v45, v35
	ds_read2_b32 v[39:40], v26 offset0:11 offset1:236
	v_add_f32_e32 v11, v36, v5
	v_mov_b32_e32 v31, v7
	s_waitcnt lgkmcnt(1)
	v_fma_f32 v21, -0.5, v11, v58
	v_add_f32_e32 v11, v36, v58
	v_mov_b32_e32 v32, v8
	v_fmac_f32_e32 v7, 0x3f5db3d7, v37
	v_fmac_f32_e32 v31, 0xbf5db3d7, v37
	v_add_f32_e32 v37, v5, v11
	v_add_f32_e32 v11, v41, v42
	v_sub_f32_e32 v34, v41, v42
	v_fmac_f32_e32 v8, 0xbf5db3d7, v20
	v_fmac_f32_e32 v32, 0x3f5db3d7, v20
	v_mov_b32_e32 v35, v21
	v_fma_f32 v20, -0.5, v11, v18
	v_fmac_f32_e32 v35, 0x3f5db3d7, v34
	v_fmac_f32_e32 v21, 0xbf5db3d7, v34
	v_sub_f32_e32 v5, v36, v5
	v_mov_b32_e32 v34, v20
	s_waitcnt vmcnt(2) lgkmcnt(0)
	v_mul_f32_e32 v11, v40, v50
	v_fmac_f32_e32 v34, 0xbf5db3d7, v5
	v_fmac_f32_e32 v20, 0x3f5db3d7, v5
	v_add_f32_e32 v5, v18, v41
	v_fma_f32 v11, v16, v49, -v11
	v_mul_f32_e32 v24, v19, v48
	v_mul_f32_e32 v16, v16, v50
	v_add_f32_e32 v36, v5, v42
	v_mul_f32_e32 v5, v55, v48
	v_fmac_f32_e32 v24, v47, v55
	v_fmac_f32_e32 v16, v49, v40
	v_fma_f32 v5, v19, v47, -v5
	v_add_f32_e32 v19, v24, v16
	v_fma_f32 v19, -0.5, v19, v57
	v_sub_f32_e32 v18, v5, v11
	v_mov_b32_e32 v41, v19
	v_fmac_f32_e32 v41, 0x3f5db3d7, v18
	v_fmac_f32_e32 v19, 0xbf5db3d7, v18
	v_add_f32_e32 v18, v24, v57
	ds_read2_b32 v[42:43], v25 offset0:5 offset1:230
	v_add_f32_e32 v26, v16, v18
	v_add_f32_e32 v18, v5, v11
	v_fma_f32 v18, -0.5, v18, v17
	v_sub_f32_e32 v16, v24, v16
	v_mov_b32_e32 v40, v18
	v_fmac_f32_e32 v40, 0xbf5db3d7, v16
	v_fmac_f32_e32 v18, 0x3f5db3d7, v16
	v_add_f32_e32 v5, v17, v5
	ds_read2_b32 v[16:17], v0 offset1:225
	v_add_f32_e32 v25, v5, v11
	s_waitcnt vmcnt(1) lgkmcnt(1)
	v_mul_f32_e32 v5, v43, v28
	v_mul_f32_e32 v0, v14, v28
	v_fma_f32 v5, v14, v27, -v5
	v_fmac_f32_e32 v0, v27, v43
	v_mul_f32_e32 v27, v15, v30
	v_fmac_f32_e32 v27, v29, v39
	v_mul_f32_e32 v11, v39, v30
	v_add_f32_e32 v14, v0, v27
	v_fma_f32 v24, v15, v29, -v11
	s_waitcnt lgkmcnt(0)
	v_fma_f32 v15, -0.5, v14, v17
	v_sub_f32_e32 v11, v5, v24
	v_mov_b32_e32 v28, v15
	v_add_f32_e32 v14, v5, v24
	v_fmac_f32_e32 v28, 0x3f5db3d7, v11
	v_fmac_f32_e32 v15, 0xbf5db3d7, v11
	v_add_f32_e32 v11, v0, v17
	v_fma_f32 v14, -0.5, v14, v10
	v_add_f32_e32 v11, v27, v11
	v_sub_f32_e32 v0, v0, v27
	v_mov_b32_e32 v27, v14
	s_waitcnt vmcnt(0)
	v_mul_f32_e32 v29, v13, v52
	v_mul_f32_e32 v39, v12, v54
	v_fmac_f32_e32 v27, 0xbf5db3d7, v0
	v_fmac_f32_e32 v14, 0x3f5db3d7, v0
	v_add_f32_e32 v0, v10, v5
	v_mul_f32_e32 v5, v33, v54
	v_fmac_f32_e32 v29, v51, v42
	v_fmac_f32_e32 v39, v53, v33
	v_mul_hi_u32 v33, v38, s1
	v_add_f32_e32 v10, v0, v24
	v_mul_f32_e32 v0, v42, v52
	v_fma_f32 v5, v12, v53, -v5
	v_add_f32_e32 v12, v29, v39
	v_fma_f32 v0, v13, v51, -v0
	v_fma_f32 v13, -0.5, v12, v16
	v_add_f32_e32 v12, v29, v16
	v_sub_f32_e32 v24, v0, v5
	v_mov_b32_e32 v17, v13
	v_add_f32_e32 v30, v39, v12
	v_add_f32_e32 v12, v0, v5
	v_add_f32_e32 v0, v9, v0
	v_fmac_f32_e32 v17, 0x3f5db3d7, v24
	v_fmac_f32_e32 v13, 0xbf5db3d7, v24
	v_sub_f32_e32 v24, v29, v39
	v_add_f32_e32 v29, v0, v5
	v_lshrrev_b32_e32 v0, 10, v33
	v_mul_u32_u24_e32 v0, 0x465, v0
	v_sub_u32_e32 v5, v38, v0
	v_mov_b32_e32 v0, s11
	v_addc_co_u32_e32 v4, vcc, v0, v4, vcc
	v_lshlrev_b64 v[0:1], 3, v[1:2]
	v_fma_f32 v12, -0.5, v12, v9
	v_add_co_u32_e32 v9, vcc, v3, v0
	v_addc_co_u32_e32 v4, vcc, v4, v1, vcc
	v_lshlrev_b32_e32 v0, 3, v5
	v_add_co_u32_e32 v0, vcc, v9, v0
	v_addc_co_u32_e32 v1, vcc, 0, v4, vcc
	v_add_co_u32_e32 v2, vcc, s0, v0
	v_mov_b32_e32 v16, v12
	v_fmac_f32_e32 v12, 0x3f5db3d7, v24
	v_addc_co_u32_e32 v3, vcc, 0, v1, vcc
	global_store_dwordx2 v[2:3], v[12:13], off offset:808
	v_add_u32_e32 v2, 0xe1, v38
	v_mul_hi_u32 v3, v2, s1
	s_movk_i32 s0, 0x4000
	global_store_dwordx2 v[0:1], v[29:30], off
	v_add_co_u32_e32 v0, vcc, s0, v0
	v_fmac_f32_e32 v16, 0xbf5db3d7, v24
	v_addc_co_u32_e32 v1, vcc, 0, v1, vcc
	global_store_dwordx2 v[0:1], v[16:17], off offset:1616
	v_lshrrev_b32_e32 v0, 10, v3
	v_mul_u32_u24_e32 v1, 0x465, v0
	v_sub_u32_e32 v1, v2, v1
	s_movk_i32 s0, 0xd2f
	v_mad_u32_u24 v5, v0, s0, v1
	v_lshlrev_b64 v[0:1], 3, v[5:6]
	v_add_u32_e32 v2, 0x1c2, v38
	v_add_co_u32_e32 v0, vcc, v9, v0
	v_addc_co_u32_e32 v1, vcc, v4, v1, vcc
	global_store_dwordx2 v[0:1], v[10:11], off
	v_add_u32_e32 v0, 0x465, v5
	v_mov_b32_e32 v1, v6
	v_lshlrev_b64 v[0:1], 3, v[0:1]
	v_add_u32_e32 v5, 0x8ca, v5
	v_add_co_u32_e32 v0, vcc, v9, v0
	v_addc_co_u32_e32 v1, vcc, v4, v1, vcc
	global_store_dwordx2 v[0:1], v[14:15], off
	v_lshlrev_b64 v[0:1], 3, v[5:6]
	v_mul_hi_u32 v3, v2, s1
	v_add_co_u32_e32 v0, vcc, v9, v0
	v_addc_co_u32_e32 v1, vcc, v4, v1, vcc
	global_store_dwordx2 v[0:1], v[27:28], off
	v_lshrrev_b32_e32 v0, 10, v3
	v_mul_u32_u24_e32 v1, 0x465, v0
	v_sub_u32_e32 v1, v2, v1
	v_mad_u32_u24 v5, v0, s0, v1
	v_lshlrev_b64 v[0:1], 3, v[5:6]
	v_add_u32_e32 v2, 0x2a3, v38
	v_add_co_u32_e32 v0, vcc, v9, v0
	v_addc_co_u32_e32 v1, vcc, v4, v1, vcc
	global_store_dwordx2 v[0:1], v[25:26], off
	v_add_u32_e32 v0, 0x465, v5
	v_mov_b32_e32 v1, v6
	v_lshlrev_b64 v[0:1], 3, v[0:1]
	v_add_u32_e32 v5, 0x8ca, v5
	v_add_co_u32_e32 v0, vcc, v9, v0
	v_addc_co_u32_e32 v1, vcc, v4, v1, vcc
	global_store_dwordx2 v[0:1], v[18:19], off
	v_lshlrev_b64 v[0:1], 3, v[5:6]
	v_mul_hi_u32 v3, v2, s1
	v_add_co_u32_e32 v0, vcc, v9, v0
	v_addc_co_u32_e32 v1, vcc, v4, v1, vcc
	global_store_dwordx2 v[0:1], v[40:41], off
	v_lshrrev_b32_e32 v0, 10, v3
	v_mul_u32_u24_e32 v1, 0x465, v0
	v_sub_u32_e32 v1, v2, v1
	;; [unrolled: 21-line block ×3, first 2 shown]
	v_mad_u32_u24 v5, v0, s0, v1
	v_lshlrev_b64 v[0:1], 3, v[5:6]
	v_add_co_u32_e32 v0, vcc, v9, v0
	v_addc_co_u32_e32 v1, vcc, v4, v1, vcc
	global_store_dwordx2 v[0:1], v[22:23], off
	v_add_u32_e32 v0, 0x465, v5
	v_mov_b32_e32 v1, v6
	v_lshlrev_b64 v[0:1], 3, v[0:1]
	v_add_u32_e32 v5, 0x8ca, v5
	v_add_co_u32_e32 v0, vcc, v9, v0
	v_addc_co_u32_e32 v1, vcc, v4, v1, vcc
	global_store_dwordx2 v[0:1], v[7:8], off
	v_lshlrev_b64 v[0:1], 3, v[5:6]
	v_add_co_u32_e32 v0, vcc, v9, v0
	v_addc_co_u32_e32 v1, vcc, v4, v1, vcc
	global_store_dwordx2 v[0:1], v[31:32], off
.LBB0_15:
	s_endpgm
	.section	.rodata,"a",@progbits
	.p2align	6, 0x0
	.amdhsa_kernel fft_rtc_fwd_len3375_factors_5_5_5_3_3_3_wgs_225_tpt_225_halfLds_sp_op_CI_CI_unitstride_sbrr_dirReg
		.amdhsa_group_segment_fixed_size 0
		.amdhsa_private_segment_fixed_size 0
		.amdhsa_kernarg_size 104
		.amdhsa_user_sgpr_count 6
		.amdhsa_user_sgpr_private_segment_buffer 1
		.amdhsa_user_sgpr_dispatch_ptr 0
		.amdhsa_user_sgpr_queue_ptr 0
		.amdhsa_user_sgpr_kernarg_segment_ptr 1
		.amdhsa_user_sgpr_dispatch_id 0
		.amdhsa_user_sgpr_flat_scratch_init 0
		.amdhsa_user_sgpr_private_segment_size 0
		.amdhsa_uses_dynamic_stack 0
		.amdhsa_system_sgpr_private_segment_wavefront_offset 0
		.amdhsa_system_sgpr_workgroup_id_x 1
		.amdhsa_system_sgpr_workgroup_id_y 0
		.amdhsa_system_sgpr_workgroup_id_z 0
		.amdhsa_system_sgpr_workgroup_info 0
		.amdhsa_system_vgpr_workitem_id 0
		.amdhsa_next_free_vgpr 67
		.amdhsa_next_free_sgpr 28
		.amdhsa_reserve_vcc 1
		.amdhsa_reserve_flat_scratch 0
		.amdhsa_float_round_mode_32 0
		.amdhsa_float_round_mode_16_64 0
		.amdhsa_float_denorm_mode_32 3
		.amdhsa_float_denorm_mode_16_64 3
		.amdhsa_dx10_clamp 1
		.amdhsa_ieee_mode 1
		.amdhsa_fp16_overflow 0
		.amdhsa_exception_fp_ieee_invalid_op 0
		.amdhsa_exception_fp_denorm_src 0
		.amdhsa_exception_fp_ieee_div_zero 0
		.amdhsa_exception_fp_ieee_overflow 0
		.amdhsa_exception_fp_ieee_underflow 0
		.amdhsa_exception_fp_ieee_inexact 0
		.amdhsa_exception_int_div_zero 0
	.end_amdhsa_kernel
	.text
.Lfunc_end0:
	.size	fft_rtc_fwd_len3375_factors_5_5_5_3_3_3_wgs_225_tpt_225_halfLds_sp_op_CI_CI_unitstride_sbrr_dirReg, .Lfunc_end0-fft_rtc_fwd_len3375_factors_5_5_5_3_3_3_wgs_225_tpt_225_halfLds_sp_op_CI_CI_unitstride_sbrr_dirReg
                                        ; -- End function
	.section	.AMDGPU.csdata,"",@progbits
; Kernel info:
; codeLenInByte = 10980
; NumSgprs: 32
; NumVgprs: 67
; ScratchSize: 0
; MemoryBound: 0
; FloatMode: 240
; IeeeMode: 1
; LDSByteSize: 0 bytes/workgroup (compile time only)
; SGPRBlocks: 3
; VGPRBlocks: 16
; NumSGPRsForWavesPerEU: 32
; NumVGPRsForWavesPerEU: 67
; Occupancy: 3
; WaveLimiterHint : 1
; COMPUTE_PGM_RSRC2:SCRATCH_EN: 0
; COMPUTE_PGM_RSRC2:USER_SGPR: 6
; COMPUTE_PGM_RSRC2:TRAP_HANDLER: 0
; COMPUTE_PGM_RSRC2:TGID_X_EN: 1
; COMPUTE_PGM_RSRC2:TGID_Y_EN: 0
; COMPUTE_PGM_RSRC2:TGID_Z_EN: 0
; COMPUTE_PGM_RSRC2:TIDIG_COMP_CNT: 0
	.type	__hip_cuid_8464b0cc0245b605,@object ; @__hip_cuid_8464b0cc0245b605
	.section	.bss,"aw",@nobits
	.globl	__hip_cuid_8464b0cc0245b605
__hip_cuid_8464b0cc0245b605:
	.byte	0                               ; 0x0
	.size	__hip_cuid_8464b0cc0245b605, 1

	.ident	"AMD clang version 19.0.0git (https://github.com/RadeonOpenCompute/llvm-project roc-6.4.0 25133 c7fe45cf4b819c5991fe208aaa96edf142730f1d)"
	.section	".note.GNU-stack","",@progbits
	.addrsig
	.addrsig_sym __hip_cuid_8464b0cc0245b605
	.amdgpu_metadata
---
amdhsa.kernels:
  - .args:
      - .actual_access:  read_only
        .address_space:  global
        .offset:         0
        .size:           8
        .value_kind:     global_buffer
      - .offset:         8
        .size:           8
        .value_kind:     by_value
      - .actual_access:  read_only
        .address_space:  global
        .offset:         16
        .size:           8
        .value_kind:     global_buffer
      - .actual_access:  read_only
        .address_space:  global
        .offset:         24
        .size:           8
        .value_kind:     global_buffer
      - .actual_access:  read_only
        .address_space:  global
        .offset:         32
        .size:           8
        .value_kind:     global_buffer
      - .offset:         40
        .size:           8
        .value_kind:     by_value
      - .actual_access:  read_only
        .address_space:  global
        .offset:         48
        .size:           8
        .value_kind:     global_buffer
      - .actual_access:  read_only
        .address_space:  global
        .offset:         56
        .size:           8
        .value_kind:     global_buffer
      - .offset:         64
        .size:           4
        .value_kind:     by_value
      - .actual_access:  read_only
        .address_space:  global
        .offset:         72
        .size:           8
        .value_kind:     global_buffer
      - .actual_access:  read_only
        .address_space:  global
        .offset:         80
        .size:           8
        .value_kind:     global_buffer
      - .actual_access:  read_only
        .address_space:  global
        .offset:         88
        .size:           8
        .value_kind:     global_buffer
      - .actual_access:  write_only
        .address_space:  global
        .offset:         96
        .size:           8
        .value_kind:     global_buffer
    .group_segment_fixed_size: 0
    .kernarg_segment_align: 8
    .kernarg_segment_size: 104
    .language:       OpenCL C
    .language_version:
      - 2
      - 0
    .max_flat_workgroup_size: 225
    .name:           fft_rtc_fwd_len3375_factors_5_5_5_3_3_3_wgs_225_tpt_225_halfLds_sp_op_CI_CI_unitstride_sbrr_dirReg
    .private_segment_fixed_size: 0
    .sgpr_count:     32
    .sgpr_spill_count: 0
    .symbol:         fft_rtc_fwd_len3375_factors_5_5_5_3_3_3_wgs_225_tpt_225_halfLds_sp_op_CI_CI_unitstride_sbrr_dirReg.kd
    .uniform_work_group_size: 1
    .uses_dynamic_stack: false
    .vgpr_count:     67
    .vgpr_spill_count: 0
    .wavefront_size: 64
amdhsa.target:   amdgcn-amd-amdhsa--gfx906
amdhsa.version:
  - 1
  - 2
...

	.end_amdgpu_metadata
